;; amdgpu-corpus repo=ROCm/aiter kind=harvested arch=n/a opt=n/a

/root/src/amdgpu-assembly/repos/ROCm__aiter/hsa/gfx950/mla/mla_a16w16_qh16_qseqlen4_gqaratio16_ps.co:	file format elf64-amdgpu

Disassembly of section .text:

0000000000002300 <_ZN5aiter38mla_a16w16_qh16_qseqlen4_gqaratio16_psE>:
	s_and_b32 s1, s1, 0xffff                                   // 000000002300: 8601FF01 0000FFFF
	s_load_dwordx2 s[28:29], s[0:1], 0xe0                      // 000000002308: C0060700 000000E0
	v_lshrrev_b32_e32 v1, 10, v0                               // 000000002310: 2002008A
	v_lshrrev_b32_e32 v2, 10, v1                               // 000000002314: 2004028A
	v_and_b32_e32 v2, 0x3ff, v2                                // 000000002318: 260404FF 000003FF
	v_and_b32_e32 v1, 0x3ff, v1                                // 000000002320: 260202FF 000003FF
	v_and_b32_e32 v0, 0x3ff, v0                                // 000000002328: 260000FF 000003FF
	v_lshrrev_b32_e32 v3, 6, v0                                // 000000002330: 20060086
	v_and_b32_e32 v0, 63, v0                                   // 000000002334: 260000BF
	s_mov_b32 s2, s2                                           // 000000002338: BE820002
	s_mov_b32 s3, s3                                           // 00000000233C: BE830003
	s_mov_b32 s4, s4                                           // 000000002340: BE840004
	v_readfirstlane_b32 s7, v3                                 // 000000002344: 7E0E0503
	s_waitcnt lgkmcnt(0)                                       // 000000002348: BF8CC07F
	s_and_b32 s29, s29, 0xffff                                 // 00000000234C: 861DFF1D 0000FFFF
	s_load_dwordx2 s[32:33], s[28:29], 0x0                     // 000000002354: C006080E 00000000
	s_load_dwordx2 s[30:31], s[28:29], 0x8                     // 00000000235C: C006078E 00000008
	s_waitcnt lgkmcnt(0)                                       // 000000002364: BF8CC07F
	s_mul_i32 s56, s2, 4                                       // 000000002368: 92388402
	s_and_b32 s33, s33, 0xffff                                 // 00000000236C: 8621FF21 0000FFFF
	s_add_u32 s32, s56, s32                                    // 000000002374: 80202038
	s_addc_u32 s33, 0, s33                                     // 000000002378: 82212180
	s_load_dword s85, s[32:33], 0x0                            // 00000000237C: C0021550 00000000
	s_load_dword s86, s[32:33], 0x4                            // 000000002384: C0021590 00000004
	s_and_b32 s31, s31, 0xffff                                 // 00000000238C: 861FFF1F 0000FFFF
	s_waitcnt lgkmcnt(0)                                       // 000000002394: BF8CC07F
	s_cmp_eq_i32 s85, s86                                      // 000000002398: BF005655
	s_cbranch_scc1 label_7C44                                  // 00000000239C: BF851E67
	s_mul_i32 s56, s85, 32                                     // 0000000023A0: 9238A055

00000000000023a4 <label_00A4>:
	s_waitcnt vmcnt(0) expcnt(0) lgkmcnt(0)                    // 0000000023A4: BF8C0000
	s_barrier                                                  // 0000000023A8: BF8A0000
	s_add_u32 s30, s56, s30                                    // 0000000023AC: 801E1E38
	s_addc_u32 s31, 0, s31                                     // 0000000023B0: 821F1F80
	s_load_dword s87, s[30:31], 0x4                            // 0000000023B4: C00215CF 00000004
	s_load_dword s78, s[30:31], 0x8                            // 0000000023BC: C002138F 00000008
	s_load_dword s79, s[30:31], 0xc                            // 0000000023C4: C00213CF 0000000C
	s_load_dword s46, s[30:31], 0x10                           // 0000000023CC: C0020B8F 00000010
	s_load_dword s47, s[30:31], 0x14                           // 0000000023D4: C0020BCF 00000014
	s_load_dword s62, s[30:31], 0x18                           // 0000000023DC: C0020F8F 00000018
	s_load_dwordx2 s[8:9], s[0:1], 0x0                         // 0000000023E4: C0060200 00000000
	s_load_dwordx2 s[12:13], s[0:1], 0x10                      // 0000000023EC: C0060300 00000010
	s_load_dwordx2 s[16:17], s[0:1], 0x20                      // 0000000023F4: C0060400 00000020
	s_load_dwordx2 s[20:21], s[0:1], 0x30                      // 0000000023FC: C0060500 00000030
	s_load_dwordx2 s[24:25], s[0:1], 0x50                      // 000000002404: C0060600 00000050
	s_load_dword s64, s[0:1], 0x70                             // 00000000240C: C0021000 00000070
	s_load_dword s65, s[0:1], 0x80                             // 000000002414: C0021040 00000080
	s_load_dword s66, s[0:1], 0xa0                             // 00000000241C: C0021080 000000A0
	s_load_dword s68, s[0:1], 0xb0                             // 000000002424: C0021100 000000B0
	s_load_dword s69, s[0:1], 0xc0                             // 00000000242C: C0021140 000000C0
	s_load_dwordx2 s[88:89], s[0:1], 0xf0                      // 000000002434: C0061600 000000F0
	s_waitcnt lgkmcnt(0)                                       // 00000000243C: BF8CC07F
	s_min_u32 s76, 16, s65                                     // 000000002440: 83CC4190
	s_sub_u32 s80, s79, s78                                    // 000000002444: 80D04E4F
	s_mul_i32 s75, 0x800, s65                                  // 000000002448: 924B41FF 00000800
	s_mul_i32 s74, 0x480, s65                                  // 000000002450: 924A41FF 00000480
	s_mul_i32 s56, 4, s65                                      // 000000002458: 92384184
	s_mov_b32 s10, s75                                         // 00000000245C: BE8A004B
	s_mov_b32 s90, -16                                         // 000000002460: BEDA00D0
	s_mov_b32 s18, s74                                         // 000000002464: BE92004A
	s_mov_b32 s14, s56                                         // 000000002468: BE8E0038
	s_mov_b32 s22, -16                                         // 00000000246C: BE9600D0
	s_mov_b32 s26, -16                                         // 000000002470: BE9A00D0
	s_mov_b32 s11, 0x20000                                     // 000000002474: BE8B00FF 00020000
	s_mov_b32 s91, 0x20000                                     // 00000000247C: BEDB00FF 00020000
	s_mov_b32 s19, 0x20000                                     // 000000002484: BE9300FF 00020000
	s_mov_b32 s15, 0x20000                                     // 00000000248C: BE8F00FF 00020000
	s_mov_b32 s23, 0x20000                                     // 000000002494: BE9700FF 00020000
	s_mov_b32 s27, 0x20000                                     // 00000000249C: BE9B00FF 00020000
	s_and_b32 s9, s9, 0xffff                                   // 0000000024A4: 8609FF09 0000FFFF
	s_and_b32 s89, s89, 0xffff                                 // 0000000024AC: 8659FF59 0000FFFF
	s_and_b32 s17, s17, 0xffff                                 // 0000000024B4: 8611FF11 0000FFFF
	s_and_b32 s13, s13, 0xffff                                 // 0000000024BC: 860DFF0D 0000FFFF
	s_and_b32 s21, s21, 0xffff                                 // 0000000024C4: 8615FF15 0000FFFF
	s_and_b32 s25, s25, 0xffff                                 // 0000000024CC: 8619FF19 0000FFFF
	s_or_b32 s9, s9, 0x40000                                   // 0000000024D4: 8709FF09 00040000
	s_or_b32 s89, s89, 0x40000                                 // 0000000024DC: 8759FF59 00040000
	s_or_b32 s17, s17, 0x40000                                 // 0000000024E4: 8711FF11 00040000
	s_or_b32 s13, s13, 0x40000                                 // 0000000024EC: 870DFF0D 00040000
	s_or_b32 s21, s21, 0x40000                                 // 0000000024F4: 8715FF15 00040000
	s_or_b32 s25, s25, 0x40000                                 // 0000000024FC: 8719FF19 00040000
	s_mov_b32 s81, 4                                           // 000000002504: BED10084
	s_mov_b32 s67, 1                                           // 000000002508: BEC30081
	s_waitcnt lgkmcnt(0)                                       // 00000000250C: BF8CC07F
	s_mov_b32 s69, 0                                           // 000000002510: BEC50080
	s_lshr_b32 s44, 32, s69                                    // 000000002514: 8F2C45A0
	s_mul_i32 s73, s44, 4                                      // 000000002518: 9249842C
	s_mul_i32 s73, s73, s67                                    // 00000000251C: 92494349
	s_mul_i32 s45, s4, s44                                     // 000000002520: 922D2C04
	s_sub_u32 s50, s47, s46                                    // 000000002524: 80B22E2F
	s_sub_u32 s82, s50, s81                                    // 000000002528: 80D25132
	s_mov_b32 s56, s62                                         // 00000000252C: BEB8003E
	s_add_u32 s82, s56, s82                                    // 000000002530: 80525238
	s_mov_b32 s83, 31                                          // 000000002534: BED3009F
	s_add_u32 s83, s83, s45                                    // 000000002538: 80532D53
	s_mul_i32 s84, s67, 32                                     // 00000000253C: 9254A043
	s_cmp_le_u32 s50, s45                                      // 000000002540: BF0B2D32
	s_cbranch_scc1 label_7C44                                  // 000000002544: BF851DFD
	s_mul_i32 s56, s50, 4                                      // 000000002548: 92388432
	s_mov_b32 s26, s56                                         // 00000000254C: BE9A0038
	s_mul_i32 s56, s46, 4                                      // 000000002550: 9238842E
	s_add_u32 s24, s56, s24                                    // 000000002554: 80181838
	s_addc_u32 s25, 0, s25                                     // 000000002558: 82191980
	s_mov_b32 s70, 0                                           // 00000000255C: BEC60080
	s_sub_u32 s71, s50, s45                                    // 000000002560: 80C72D32
	s_mul_i32 s37, s67, s44                                    // 000000002564: 92252C43
	s_mov_b32 s36, s71                                         // 000000002568: BEA40047
	v_cvt_f32_u32_e32 v22, s37                                 // 00000000256C: 7E2C0C25
	s_sub_i32 s56, 0, s37                                      // 000000002570: 81B82580
	v_rcp_iflag_f32_e32 v22, v22                               // 000000002574: 7E2C4716
	s_nop 0                                                    // 000000002578: BF800000
	v_mul_f32_e32 v22, 0x4f7ffffe, v22                         // 00000000257C: 0A2C2CFF 4F7FFFFE
	v_cvt_u32_f32_e32 v22, v22                                 // 000000002584: 7E2C0F16
	v_mul_lo_u32 v23, s56, v22                                 // 000000002588: D2850017 00022C38
	v_mul_hi_u32 v23, v22, v23                                 // 000000002590: D2860017 00022F16
	v_add_u32_e32 v22, v22, v23                                // 000000002598: 682C2F16
	v_mul_hi_u32 v22, s36, v22                                 // 00000000259C: D2860016 00022C24
	v_mul_lo_u32 v23, v22, s37                                 // 0000000025A4: D2850017 00004B16
	v_sub_u32_e32 v25, s36, v23                                // 0000000025AC: 6A322E24
	v_add_u32_e32 v24, 1, v22                                  // 0000000025B0: 68302C81
	v_cmp_le_u32_e32 vcc, s37, v25                             // 0000000025B4: 7D963225
	v_subrev_u32_e32 v23, s37, v25                             // 0000000025B8: 6C2E3225
	s_nop 0                                                    // 0000000025BC: BF800000
	v_cndmask_b32_e32 v22, v22, v24, vcc                       // 0000000025C0: 002C3116
	v_cndmask_b32_e32 v25, v25, v23, vcc                       // 0000000025C4: 00322F19
	v_add_u32_e32 v23, 1, v22                                  // 0000000025C8: 682E2C81
	v_cmp_le_u32_e32 vcc, s37, v25                             // 0000000025CC: 7D963225
	s_nop 1                                                    // 0000000025D0: BF800001
	v_cndmask_b32_e32 v25, v22, v23, vcc                       // 0000000025D4: 00322F16
	s_nop 3                                                    // 0000000025D8: BF800003
	v_readfirstlane_b32 s38, v25                               // 0000000025DC: 7E4C0519
	s_nop 3                                                    // 0000000025E0: BF800003
	s_mov_b32 s71, s38                                         // 0000000025E4: BEC70026
	s_mul_i32 s56, s71, s37                                    // 0000000025E8: 92382547
	s_sub_u32 s56, s36, s56                                    // 0000000025EC: 80B83824
	s_mov_b32 s57, 0                                           // 0000000025F0: BEB90080
	s_cmp_lt_u32 s56, s44                                      // 0000000025F4: BF0A2C38
	s_cselect_b32 s57, s57, 1                                  // 0000000025F8: 85398139
	s_add_u32 s71, s57, s71                                    // 0000000025FC: 80474739
	s_cmpk_eq_u32 s57, 0x1                                     // 000000002600: B4390001
	s_cselect_b32 s49, 0, s56                                  // 000000002604: 85313880
	s_mov_b32 s48, s49                                         // 000000002608: BEB00031
	v_lshrrev_b32_e32 v22, 2, v0                               // 00000000260C: 202C0082
	s_lshr_b32 s57, s7, 1                                      // 000000002610: 8F398107
	s_mul_i32 s56, 16, s57                                     // 000000002614: 92383990
	v_add_u32_e64 v21, v22, s56                                // 000000002618: D1340015 00007116
	v_add_u32_e32 v21, s45, v21                                // 000000002620: 682A2A2D
	v_lshlrev_b32_e32 v21, 2, v21                              // 000000002624: 242A2A82
	buffer_load_dword v17, v21, s[24:27], 0 offen              // 000000002628: E0501000 80061115
	v_add_u32_e32 v21, s73, v21                                // 000000002630: 682A2A49
	buffer_load_dword v18, v21, s[24:27], 0 offen              // 000000002634: E0501000 80061215
	v_add_u32_e32 v21, s73, v21                                // 00000000263C: 682A2A49
	s_mul_i32 s56, 0x480, 16                                   // 000000002640: 923890FF 00000480
	s_mul_i32 s56, s78, s56                                    // 000000002648: 9238384E
	s_add_u32 s16, s56, s16                                    // 00000000264C: 80101038
	s_addc_u32 s17, 0, s17                                     // 000000002650: 82111180
	s_mul_i32 s56, s7, 0x400                                   // 000000002654: 9238FF07 00000400
	s_add_u32 m0, 0, s56                                       // 00000000265C: 807C3880
	v_and_b32_e32 v22, 3, v0                                   // 000000002660: 262C0083
	v_mov_b32_e32 v23, 0                                       // 000000002664: 7E2E0280
	s_mov_b32 s56, 0                                           // 000000002668: BEB80080
	s_mov_b32 s57, -1                                          // 00000000266C: BEB900C1
	v_cndmask_b32_e64 v24, v23, v22, s[56:57]                  // 000000002670: D1000018 00E22D17
	s_nop 2                                                    // 000000002678: BF800002
	v_mov_b32_dpp v24, v24 quad_perm:[2,3,0,1] row_mask:0xf bank_mask:0xf// 00000000267C: 7E3002FA FF004E18
	v_cndmask_b32_e64 v25, v22, v24, s[56:57]                  // 000000002684: D1000019 00E23116
	v_lshlrev_b32_e32 v25, 4, v25                              // 00000000268C: 24323284
	v_mov_b32_e32 v1, v25                                      // 000000002690: 7E020319
	s_and_b32 s56, 1, s7                                       // 000000002694: 86380781
	s_mul_i32 s56, s56, 0x240                                  // 000000002698: 9238FF38 00000240
	v_add_u32_e64 v1, v1, s56                                  // 0000000026A0: D1340001 00007101
	v_lshrrev_b32_e32 v22, 2, v0                               // 0000000026A8: 202C0082
	s_mov_b32 s56, 0x480                                       // 0000000026AC: BEB800FF 00000480
	v_mul_i32_i24_e64 v22, v22, s56                            // 0000000026B4: D1060016 00007116
	s_mul_i32 s56, s7, 64                                      // 0000000026BC: 9238C007
	v_add_u32_e32 v23, v22, v25                                // 0000000026C0: 682E3316
	v_add_u32_e64 v23, v23, s56                                // 0000000026C4: D1340017 00007117
	buffer_load_dwordx4 v23, s[16:19], 0 offen lds             // 0000000026CC: E05D1000 80040017
	s_add_u32 m0, m0, 0x1000                                   // 0000000026D4: 807CFF7C 00001000
	v_add_u32_e32 v23, 0x100, v23                              // 0000000026DC: 682E2EFF 00000100
	buffer_load_dwordx4 v23, s[16:19], 0 offen lds             // 0000000026E4: E05D1000 80040017
	s_add_u32 m0, m0, 0x1000                                   // 0000000026EC: 807CFF7C 00001000
	v_add_u32_e32 v23, 0x100, v23                              // 0000000026F4: 682E2EFF 00000100
	buffer_load_dwordx4 v23, s[16:19], 0 offen lds             // 0000000026FC: E05D1000 80040017
	s_add_u32 m0, m0, 0x1000                                   // 000000002704: 807CFF7C 00001000
	v_add_u32_e32 v23, 0x100, v23                              // 00000000270C: 682E2EFF 00000100
	buffer_load_dwordx4 v23, s[16:19], 0 offen lds             // 000000002714: E05D1000 80040017
	s_add_u32 m0, m0, 0x1000                                   // 00000000271C: 807CFF7C 00001000
	v_add_u32_e32 v23, 0x100, v23                              // 000000002724: 682E2EFF 00000100
	buffer_load_dwordx4 v23, s[16:19], 0 offen lds             // 00000000272C: E05D1000 80040017
	s_add_u32 m0, m0, 0x1000                                   // 000000002734: 807CFF7C 00001000
	v_add_u32_e32 v23, 0x100, v23                              // 00000000273C: 682E2EFF 00000100
	v_add_u32_e32 v23, 0x4300, v23                             // 000000002744: 682E2EFF 00004300
	buffer_load_dwordx4 v23, s[16:19], 0 offen lds             // 00000000274C: E05D1000 80040017
	s_add_u32 m0, m0, 0x1000                                   // 000000002754: 807CFF7C 00001000
	v_add_u32_e32 v23, 0x100, v23                              // 00000000275C: 682E2EFF 00000100
	buffer_load_dwordx4 v23, s[16:19], 0 offen lds             // 000000002764: E05D1000 80040017
	s_add_u32 m0, m0, 0x1000                                   // 00000000276C: 807CFF7C 00001000
	v_add_u32_e32 v23, 0x100, v23                              // 000000002774: 682E2EFF 00000100
	buffer_load_dwordx4 v23, s[16:19], 0 offen lds             // 00000000277C: E05D1000 80040017
	s_add_u32 m0, m0, 0x1000                                   // 000000002784: 807CFF7C 00001000
	v_add_u32_e32 v23, 0x100, v23                              // 00000000278C: 682E2EFF 00000100
	buffer_load_dwordx4 v23, s[16:19], 0 offen lds             // 000000002794: E05D1000 80040017
	s_add_u32 m0, m0, 0x1000                                   // 00000000279C: 807CFF7C 00001000
	v_add_u32_e32 v23, 0x100, v23                              // 0000000027A4: 682E2EFF 00000100
	buffer_load_dwordx4 v23, s[16:19], 0 offen lds             // 0000000027AC: E05D1000 80040017
	s_add_u32 m0, m0, 0x1000                                   // 0000000027B4: 807CFF7C 00001000
	v_add_u32_e32 v23, 0x100, v23                              // 0000000027BC: 682E2EFF 00000100
	v_add_u32_e32 v23, 0x4300, v23                             // 0000000027C4: 682E2EFF 00004300
	buffer_load_dwordx4 v23, s[16:19], 0 offen lds             // 0000000027CC: E05D1000 80040017
	s_add_u32 m0, m0, 0x1000                                   // 0000000027D4: 807CFF7C 00001000
	v_add_u32_e32 v23, 0x100, v23                              // 0000000027DC: 682E2EFF 00000100
	buffer_load_dwordx4 v23, s[16:19], 0 offen lds             // 0000000027E4: E05D1000 80040017
	s_add_u32 m0, m0, 0x1000                                   // 0000000027EC: 807CFF7C 00001000
	v_add_u32_e32 v23, 0x100, v23                              // 0000000027F4: 682E2EFF 00000100
	buffer_load_dwordx4 v23, s[16:19], 0 offen lds             // 0000000027FC: E05D1000 80040017
	s_add_u32 m0, m0, 0x1000                                   // 000000002804: 807CFF7C 00001000
	v_add_u32_e32 v23, 0x100, v23                              // 00000000280C: 682E2EFF 00000100
	buffer_load_dwordx4 v23, s[16:19], 0 offen lds             // 000000002814: E05D1000 80040017
	s_add_u32 m0, m0, 0x1000                                   // 00000000281C: 807CFF7C 00001000
	v_add_u32_e32 v23, 0x100, v23                              // 000000002824: 682E2EFF 00000100
	buffer_load_dwordx4 v23, s[16:19], 0 offen lds             // 00000000282C: E05D1000 80040017
	s_add_u32 m0, m0, 0x1000                                   // 000000002834: 807CFF7C 00001000
	v_add_u32_e32 v23, 0x100, v23                              // 00000000283C: 682E2EFF 00000100
	v_add_u32_e32 v23, 0x4300, v23                             // 000000002844: 682E2EFF 00004300
	buffer_load_dwordx4 v23, s[16:19], 0 offen lds             // 00000000284C: E05D1000 80040017
	s_add_u32 m0, m0, 0x1000                                   // 000000002854: 807CFF7C 00001000
	v_add_u32_e32 v23, 0x100, v23                              // 00000000285C: 682E2EFF 00000100
	buffer_load_dwordx4 v23, s[16:19], 0 offen lds             // 000000002864: E05D1000 80040017
	s_add_u32 m0, m0, 0x1000                                   // 00000000286C: 807CFF7C 00001000
	v_add_u32_e32 v23, 0x100, v23                              // 000000002874: 682E2EFF 00000100
	buffer_load_dwordx4 v23, s[16:19], 0 offen lds             // 00000000287C: E05D1000 80040017
	s_add_u32 m0, m0, 0x1000                                   // 000000002884: 807CFF7C 00001000
	v_add_u32_e32 v23, 0x100, v23                              // 00000000288C: 682E2EFF 00000100
	buffer_load_dwordx4 v23, s[16:19], 0 offen lds             // 000000002894: E05D1000 80040017
	s_add_u32 m0, m0, 0x1000                                   // 00000000289C: 807CFF7C 00001000
	v_add_u32_e32 v23, 0x100, v23                              // 0000000028A4: 682E2EFF 00000100
	buffer_load_dwordx4 v23, s[16:19], 0 offen lds             // 0000000028AC: E05D1000 80040017
	s_add_u32 m0, m0, 0x1000                                   // 0000000028B4: 807CFF7C 00001000
	v_add_u32_e32 v23, 0x100, v23                              // 0000000028BC: 682E2EFF 00000100
	v_add_u32_e32 v23, 0x4300, v23                             // 0000000028C4: 682E2EFF 00004300
	s_mov_b32 s52, 0x7060302                                   // 0000000028CC: BEB400FF 07060302
	s_mov_b32 s53, 0x5040100                                   // 0000000028D4: BEB500FF 05040100
	s_mul_i32 s51, s7, 4                                       // 0000000028DC: 92338407
	s_mov_b32 s6, 0x3fb8aa3b                                   // 0000000028E0: BE8600FF 3FB8AA3B
	v_mov_b32_e32 v23, s6                                      // 0000000028E8: 7E2E0206
	v_mov_b32_e32 v22, s64                                     // 0000000028EC: 7E2C0240
	v_mul_f32_e32 v22, s6, v22                                 // 0000000028F0: 0A2C2C06
	v_rcp_f32_e32 v23, v23                                     // 0000000028F4: 7E2E4517
	v_mov_b32_e32 v2, 0xff800000                               // 0000000028F8: 7E0402FF FF800000
	v_mov_b32_e32 v12, 0                                       // 000000002900: 7E180280
	v_mov_b32_e32 v4, 0                                        // 000000002904: 7E080280
	v_readfirstlane_b32 s5, v22                                // 000000002908: 7E0A0516
	v_readfirstlane_b32 s63, v23                               // 00000000290C: 7E7E0517
	s_waitcnt vmcnt(20)                                        // 000000002910: BF8C4F74
	v_mul_u32_u24_e64 v25, v17, s68                            // 000000002914: D1080019 00008911
	v_add_u32_e32 v25, v25, v1                                 // 00000000291C: 68320319
	s_mov_b32 s56, 0x14000                                     // 000000002920: BEB800FF 00014000
	s_mul_i32 s57, s7, 0x2400                                  // 000000002928: 9239FF07 00002400
	s_add_u32 m0, s56, s57                                     // 000000002930: 807C3938
	buffer_load_dwordx4 v25, s[20:23], 0 offen lds             // 000000002934: E05D1000 80050019
	s_add_i32 m0, m0, 0x3c0                                    // 00000000293C: 817CFF7C 000003C0
	buffer_load_dwordx4 v25, s[20:23], 0 offen offset:64 lds   // 000000002944: E05D1040 80050019
	s_add_i32 m0, m0, 0x3c0                                    // 00000000294C: 817CFF7C 000003C0
	buffer_load_dwordx4 v25, s[20:23], 0 offen offset:128 lds  // 000000002954: E05D1080 80050019
	s_add_i32 m0, m0, 0x3c0                                    // 00000000295C: 817CFF7C 000003C0
	buffer_load_dwordx4 v25, s[20:23], 0 offen offset:192 lds  // 000000002964: E05D10C0 80050019
	s_add_i32 m0, m0, 0x3c0                                    // 00000000296C: 817CFF7C 000003C0
	buffer_load_dwordx4 v25, s[20:23], 0 offen offset:256 lds  // 000000002974: E05D1100 80050019
	s_add_i32 m0, m0, 0x3c0                                    // 00000000297C: 817CFF7C 000003C0
	buffer_load_dwordx4 v25, s[20:23], 0 offen offset:320 lds  // 000000002984: E05D1140 80050019
	s_add_i32 m0, m0, 0x3c0                                    // 00000000298C: 817CFF7C 000003C0
	buffer_load_dwordx4 v25, s[20:23], 0 offen offset:384 lds  // 000000002994: E05D1180 80050019
	s_add_i32 m0, m0, 0x3c0                                    // 00000000299C: 817CFF7C 000003C0
	buffer_load_dwordx4 v25, s[20:23], 0 offen offset:448 lds  // 0000000029A4: E05D11C0 80050019
	s_add_i32 m0, m0, 0x3c0                                    // 0000000029AC: 817CFF7C 000003C0
	buffer_load_dwordx4 v25, s[20:23], 0 offen offset:512 lds  // 0000000029B4: E05D1200 80050019
	s_add_i32 m0, m0, 0x3c0                                    // 0000000029BC: 817CFF7C 000003C0
	buffer_load_dword v19, v21, s[24:27], 0 offen              // 0000000029C4: E0501000 80061315
	v_add_u32_e32 v21, s73, v21                                // 0000000029CC: 682A2A49
	v_lshrrev_b32_e32 v22, 4, v0                               // 0000000029D0: 202C0084
	v_lshlrev_b32_e32 v22, 2, v22                              // 0000000029D4: 242C2C82
	v_sub_u32_e32 v23, 12, v22                                 // 0000000029D8: 6A2E2C8C
	v_mov_b32_e32 v24, v23                                     // 0000000029DC: 7E300317
	s_nop 1                                                    // 0000000029E0: BF800001
	v_permlane16_swap_b32_e32 v23, v24                         // 0000000029E4: 7E2EB318
	s_nop 1                                                    // 0000000029E8: BF800001
	v_permlane16_swap_b32_e32 v24, v23                         // 0000000029EC: 7E30B317
	s_mov_b32 s56, 0xff00ff00                                  // 0000000029F0: BEB800FF FF00FF00
	s_mov_b32 s57, 0xff00ff00                                  // 0000000029F8: BEB900FF FF00FF00
	v_cndmask_b32_e64 v24, v22, v23, s[56:57]                  // 000000002A00: D1000018 00E22F16
	v_and_b32_e32 v22, 15, v0                                  // 000000002A08: 262C008F
	v_lshlrev_b32_e32 v22, 4, v22                              // 000000002A0C: 242C2C84
	v_add_u32_e32 v4, v22, v24                                 // 000000002A10: 68083116
	v_lshlrev_b32_e32 v4, 2, v4                                // 000000002A14: 24080882
	s_mul_i32 s56, s7, 0x5000                                  // 000000002A18: 9238FF07 00005000
	v_add_u32_e32 v4, s56, v4                                  // 000000002A20: 68080838
	s_waitcnt vmcnt(10)                                        // 000000002A24: BF8C0F7A
	s_barrier                                                  // 000000002A28: BF8A0000
	ds_read_b128 a[0:3], v4                                    // 000000002A2C: DBFE0000 00000004
	ds_read_b128 a[4:7], v4 offset:1024                        // 000000002A34: DBFE0400 04000004
	ds_read_b128 a[8:11], v4 offset:2048                       // 000000002A3C: DBFE0800 08000004
	ds_read_b128 a[12:15], v4 offset:3072                      // 000000002A44: DBFE0C00 0C000004
	ds_read_b128 a[16:19], v4 offset:4096                      // 000000002A4C: DBFE1000 10000004
	ds_read_b128 a[20:23], v4 offset:5120                      // 000000002A54: DBFE1400 14000004
	ds_read_b128 a[24:27], v4 offset:6144                      // 000000002A5C: DBFE1800 18000004
	ds_read_b128 a[28:31], v4 offset:7168                      // 000000002A64: DBFE1C00 1C000004
	ds_read_b128 a[32:35], v4 offset:8192                      // 000000002A6C: DBFE2000 20000004
	ds_read_b128 a[36:39], v4 offset:9216                      // 000000002A74: DBFE2400 24000004
	ds_read_b128 a[40:43], v4 offset:10240                     // 000000002A7C: DBFE2800 28000004
	ds_read_b128 a[44:47], v4 offset:11264                     // 000000002A84: DBFE2C00 2C000004
	ds_read_b128 a[48:51], v4 offset:12288                     // 000000002A8C: DBFE3000 30000004
	ds_read_b128 a[52:55], v4 offset:13312                     // 000000002A94: DBFE3400 34000004
	ds_read_b128 a[56:59], v4 offset:14336                     // 000000002A9C: DBFE3800 38000004
	ds_read_b128 a[60:63], v4 offset:15360                     // 000000002AA4: DBFE3C00 3C000004
	ds_read_b128 a[64:67], v4 offset:16384                     // 000000002AAC: DBFE4000 40000004
	ds_read_b128 a[68:71], v4 offset:17408                     // 000000002AB4: DBFE4400 44000004
	v_mov_b32_e32 v34, 0                                       // 000000002ABC: 7E440280
	v_mov_b32_e32 v35, 0                                       // 000000002AC0: 7E460280
	v_mov_b32_e32 v36, 0                                       // 000000002AC4: 7E480280
	v_mov_b32_e32 v37, 0                                       // 000000002AC8: 7E4A0280
	v_mov_b32_e32 v38, 0                                       // 000000002ACC: 7E4C0280
	v_mov_b32_e32 v39, 0                                       // 000000002AD0: 7E4E0280
	v_mov_b32_e32 v40, 0                                       // 000000002AD4: 7E500280
	v_mov_b32_e32 v41, 0                                       // 000000002AD8: 7E520280
	v_mov_b32_e32 v42, 0                                       // 000000002ADC: 7E540280
	v_mov_b32_e32 v43, 0                                       // 000000002AE0: 7E560280
	v_mov_b32_e32 v44, 0                                       // 000000002AE4: 7E580280
	v_mov_b32_e32 v45, 0                                       // 000000002AE8: 7E5A0280
	v_mov_b32_e32 v46, 0                                       // 000000002AEC: 7E5C0280
	v_mov_b32_e32 v47, 0                                       // 000000002AF0: 7E5E0280
	v_mov_b32_e32 v48, 0                                       // 000000002AF4: 7E600280
	v_mov_b32_e32 v49, 0                                       // 000000002AF8: 7E620280
	v_mov_b32_e32 v50, 0                                       // 000000002AFC: 7E640280
	v_mov_b32_e32 v51, 0                                       // 000000002B00: 7E660280
	v_mov_b32_e32 v52, 0                                       // 000000002B04: 7E680280
	v_mov_b32_e32 v53, 0                                       // 000000002B08: 7E6A0280
	v_mov_b32_e32 v54, 0                                       // 000000002B0C: 7E6C0280
	v_mov_b32_e32 v55, 0                                       // 000000002B10: 7E6E0280
	v_mov_b32_e32 v56, 0                                       // 000000002B14: 7E700280
	v_mov_b32_e32 v57, 0                                       // 000000002B18: 7E720280
	v_mov_b32_e32 v58, 0                                       // 000000002B1C: 7E740280
	v_mov_b32_e32 v59, 0                                       // 000000002B20: 7E760280
	v_mov_b32_e32 v60, 0                                       // 000000002B24: 7E780280
	v_mov_b32_e32 v61, 0                                       // 000000002B28: 7E7A0280
	v_mov_b32_e32 v62, 0                                       // 000000002B2C: 7E7C0280
	v_mov_b32_e32 v63, 0                                       // 000000002B30: 7E7E0280
	v_mov_b32_e32 v64, 0                                       // 000000002B34: 7E800280
	v_mov_b32_e32 v65, 0                                       // 000000002B38: 7E820280
	v_mov_b32_e32 v66, 0                                       // 000000002B3C: 7E840280
	v_mov_b32_e32 v67, 0                                       // 000000002B40: 7E860280
	v_mov_b32_e32 v68, 0                                       // 000000002B44: 7E880280
	v_mov_b32_e32 v69, 0                                       // 000000002B48: 7E8A0280
	v_mov_b32_e32 v70, 0                                       // 000000002B4C: 7E8C0280
	v_mov_b32_e32 v71, 0                                       // 000000002B50: 7E8E0280
	v_mov_b32_e32 v72, 0                                       // 000000002B54: 7E900280
	v_mov_b32_e32 v73, 0                                       // 000000002B58: 7E920280
	v_mov_b32_e32 v74, 0                                       // 000000002B5C: 7E940280
	v_mov_b32_e32 v75, 0                                       // 000000002B60: 7E960280
	v_mov_b32_e32 v76, 0                                       // 000000002B64: 7E980280
	v_mov_b32_e32 v77, 0                                       // 000000002B68: 7E9A0280
	v_mov_b32_e32 v78, 0                                       // 000000002B6C: 7E9C0280
	v_mov_b32_e32 v79, 0                                       // 000000002B70: 7E9E0280
	v_mov_b32_e32 v80, 0                                       // 000000002B74: 7EA00280
	v_mov_b32_e32 v81, 0                                       // 000000002B78: 7EA20280
	v_mov_b32_e32 v82, 0                                       // 000000002B7C: 7EA40280
	v_mov_b32_e32 v83, 0                                       // 000000002B80: 7EA60280
	v_mov_b32_e32 v84, 0                                       // 000000002B84: 7EA80280
	v_mov_b32_e32 v85, 0                                       // 000000002B88: 7EAA0280
	v_mov_b32_e32 v86, 0                                       // 000000002B8C: 7EAC0280
	v_mov_b32_e32 v87, 0                                       // 000000002B90: 7EAE0280
	v_mov_b32_e32 v88, 0                                       // 000000002B94: 7EB00280
	v_mov_b32_e32 v89, 0                                       // 000000002B98: 7EB20280
	v_mov_b32_e32 v90, 0                                       // 000000002B9C: 7EB40280
	v_mov_b32_e32 v91, 0                                       // 000000002BA0: 7EB60280
	v_mov_b32_e32 v92, 0                                       // 000000002BA4: 7EB80280
	v_mov_b32_e32 v93, 0                                       // 000000002BA8: 7EBA0280
	v_mov_b32_e32 v94, 0                                       // 000000002BAC: 7EBC0280
	v_mov_b32_e32 v95, 0                                       // 000000002BB0: 7EBE0280
	v_mov_b32_e32 v96, 0                                       // 000000002BB4: 7EC00280
	v_mov_b32_e32 v97, 0                                       // 000000002BB8: 7EC20280
	v_mov_b32_e32 v98, 0                                       // 000000002BBC: 7EC40280
	v_mov_b32_e32 v99, 0                                       // 000000002BC0: 7EC60280
	v_mov_b32_e32 v100, 0                                      // 000000002BC4: 7EC80280
	v_mov_b32_e32 v101, 0                                      // 000000002BC8: 7ECA0280
	v_mov_b32_e32 v102, 0                                      // 000000002BCC: 7ECC0280
	v_mov_b32_e32 v103, 0                                      // 000000002BD0: 7ECE0280
	v_mov_b32_e32 v104, 0                                      // 000000002BD4: 7ED00280
	v_mov_b32_e32 v105, 0                                      // 000000002BD8: 7ED20280
	v_mov_b32_e32 v106, 0                                      // 000000002BDC: 7ED40280
	v_mov_b32_e32 v107, 0                                      // 000000002BE0: 7ED60280
	v_mov_b32_e32 v108, 0                                      // 000000002BE4: 7ED80280
	v_mov_b32_e32 v109, 0                                      // 000000002BE8: 7EDA0280
	v_mov_b32_e32 v110, 0                                      // 000000002BEC: 7EDC0280
	v_mov_b32_e32 v111, 0                                      // 000000002BF0: 7EDE0280
	v_mov_b32_e32 v112, 0                                      // 000000002BF4: 7EE00280
	v_mov_b32_e32 v113, 0                                      // 000000002BF8: 7EE20280
	v_mov_b32_e32 v114, 0                                      // 000000002BFC: 7EE40280
	v_mov_b32_e32 v115, 0                                      // 000000002C00: 7EE60280
	v_mov_b32_e32 v116, 0                                      // 000000002C04: 7EE80280
	v_mov_b32_e32 v117, 0                                      // 000000002C08: 7EEA0280
	v_mov_b32_e32 v118, 0                                      // 000000002C0C: 7EEC0280
	v_mov_b32_e32 v119, 0                                      // 000000002C10: 7EEE0280
	v_mov_b32_e32 v120, 0                                      // 000000002C14: 7EF00280
	v_mov_b32_e32 v121, 0                                      // 000000002C18: 7EF20280
	v_mov_b32_e32 v122, 0                                      // 000000002C1C: 7EF40280
	v_mov_b32_e32 v123, 0                                      // 000000002C20: 7EF60280
	v_mov_b32_e32 v124, 0                                      // 000000002C24: 7EF80280
	v_mov_b32_e32 v125, 0                                      // 000000002C28: 7EFA0280
	v_mov_b32_e32 v126, 0                                      // 000000002C2C: 7EFC0280
	v_mov_b32_e32 v127, 0                                      // 000000002C30: 7EFE0280
	v_mov_b32_e32 v128, 0                                      // 000000002C34: 7F000280
	v_mov_b32_e32 v129, 0                                      // 000000002C38: 7F020280
	v_mov_b32_e32 v130, 0                                      // 000000002C3C: 7F040280
	v_mov_b32_e32 v131, 0                                      // 000000002C40: 7F060280
	v_mov_b32_e32 v132, 0                                      // 000000002C44: 7F080280
	v_mov_b32_e32 v133, 0                                      // 000000002C48: 7F0A0280
	v_mov_b32_e32 v134, 0                                      // 000000002C4C: 7F0C0280
	v_mov_b32_e32 v135, 0                                      // 000000002C50: 7F0E0280
	v_mov_b32_e32 v136, 0                                      // 000000002C54: 7F100280
	v_mov_b32_e32 v137, 0                                      // 000000002C58: 7F120280
	v_mov_b32_e32 v138, 0                                      // 000000002C5C: 7F140280
	v_mov_b32_e32 v139, 0                                      // 000000002C60: 7F160280
	v_mov_b32_e32 v140, 0                                      // 000000002C64: 7F180280
	v_mov_b32_e32 v141, 0                                      // 000000002C68: 7F1A0280
	v_mov_b32_e32 v142, 0                                      // 000000002C6C: 7F1C0280
	v_mov_b32_e32 v143, 0                                      // 000000002C70: 7F1E0280
	v_mov_b32_e32 v144, 0                                      // 000000002C74: 7F200280
	v_mov_b32_e32 v145, 0                                      // 000000002C78: 7F220280
	v_mov_b32_e32 v146, 0                                      // 000000002C7C: 7F240280
	v_mov_b32_e32 v147, 0                                      // 000000002C80: 7F260280
	v_mov_b32_e32 v148, 0                                      // 000000002C84: 7F280280
	v_mov_b32_e32 v149, 0                                      // 000000002C88: 7F2A0280
	v_mov_b32_e32 v150, 0                                      // 000000002C8C: 7F2C0280
	v_mov_b32_e32 v151, 0                                      // 000000002C90: 7F2E0280
	v_mov_b32_e32 v152, 0                                      // 000000002C94: 7F300280
	v_mov_b32_e32 v153, 0                                      // 000000002C98: 7F320280
	v_mov_b32_e32 v154, 0                                      // 000000002C9C: 7F340280
	v_mov_b32_e32 v155, 0                                      // 000000002CA0: 7F360280
	v_mov_b32_e32 v156, 0                                      // 000000002CA4: 7F380280
	v_mov_b32_e32 v157, 0                                      // 000000002CA8: 7F3A0280
	v_mov_b32_e32 v158, 0                                      // 000000002CAC: 7F3C0280
	v_mov_b32_e32 v159, 0                                      // 000000002CB0: 7F3E0280
	v_mov_b32_e32 v160, 0                                      // 000000002CB4: 7F400280
	v_mov_b32_e32 v161, 0                                      // 000000002CB8: 7F420280
	v_lshrrev_b32_e32 v22, 4, v0                               // 000000002CBC: 202C0084
	v_lshlrev_b32_e32 v22, 2, v22                              // 000000002CC0: 242C2C82
	v_sub_u32_e32 v23, 12, v22                                 // 000000002CC4: 6A2E2C8C
	v_mov_b32_e32 v24, v23                                     // 000000002CC8: 7E300317
	s_nop 1                                                    // 000000002CCC: BF800001
	v_permlane16_swap_b32_e32 v23, v24                         // 000000002CD0: 7E2EB318
	s_nop 1                                                    // 000000002CD4: BF800001
	v_permlane16_swap_b32_e32 v24, v23                         // 000000002CD8: 7E30B317
	s_mov_b32 s56, 0xff00ff00                                  // 000000002CDC: BEB800FF FF00FF00
	s_mov_b32 s57, 0xff00ff00                                  // 000000002CE4: BEB900FF FF00FF00
	v_cndmask_b32_e64 v24, v22, v23, s[56:57]                  // 000000002CEC: D1000018 00E22F16
	v_and_b32_e32 v22, 15, v0                                  // 000000002CF4: 262C008F
	v_lshlrev_b32_e32 v22, 4, v22                              // 000000002CF8: 242C2C84
	v_add_u32_e32 v14, v22, v24                                // 000000002CFC: 681C3116
	v_lshlrev_b32_e32 v15, 2, v14                              // 000000002D00: 241E1C82
	s_mov_b32 s56, 0xb000                                      // 000000002D04: BEB800FF 0000B000
	v_add_u32_e32 v14, s56, v15                                // 000000002D0C: 681C1E38
	s_mov_b32 s57, 0x9000                                      // 000000002D10: BEB900FF 00009000
	v_add_u32_e32 v15, s57, v14                                // 000000002D18: 681E1C39
	v_add_u32_e32 v16, s57, v15                                // 000000002D1C: 68201E39
	v_and_b32_e32 v22, 15, v0                                  // 000000002D20: 262C008F
	v_lshrrev_b32_e32 v23, 2, v22                              // 000000002D24: 202E2C82
	v_and_b32_e32 v24, 16, v0                                  // 000000002D28: 26300090
	v_lshrrev_b32_e32 v24, 1, v24                              // 000000002D2C: 20303081
	v_add_u32_e32 v25, v24, v23                                // 000000002D30: 68322F18
	v_lshlrev_b32_e32 v25, 4, v25                              // 000000002D34: 24323284
	v_and_b32_e32 v23, 3, v0                                   // 000000002D38: 262E0083
	v_lshlrev_b32_e32 v24, 1, v23                              // 000000002D3C: 24302E81
	v_add_u32_e32 v25, v25, v24                                // 000000002D40: 68323119
	v_mov_b32_e32 v22, 0                                       // 000000002D44: 7E2C0280
	v_mov_b32_e32 v23, 8                                       // 000000002D48: 7E2E0288
	s_mov_b32 s57, 0xffff0000                                  // 000000002D4C: BEB900FF FFFF0000
	s_mov_b32 s56, 0xffff0000                                  // 000000002D54: BEB800FF FFFF0000
	v_cndmask_b32_e64 v34, v22, v23, s[56:57]                  // 000000002D5C: D1000022 00E22F16
	v_cndmask_b32_e64 v35, v23, v22, s[56:57]                  // 000000002D64: D1000023 00E22D17
	v_add_u32_e32 v6, v25, v34                                 // 000000002D6C: 680C4519
	v_add_u32_e32 v7, v25, v35                                 // 000000002D70: 680E4719
	v_lshrrev_b32_e32 v22, 5, v0                               // 000000002D74: 202C0085
	s_mov_b32 s57, 0x1200                                      // 000000002D78: BEB900FF 00001200
	v_mul_i32_i24_e32 v22, s57, v22                            // 000000002D80: 0C2C2C39
	v_add_u32_e32 v6, v6, v22                                  // 000000002D84: 680C2D06
	v_add_u32_e32 v7, v7, v22                                  // 000000002D88: 680E2D07
	v_lshlrev_b32_e32 v6, 2, v6                                // 000000002D8C: 240C0C82
	v_lshlrev_b32_e32 v7, 2, v7                                // 000000002D90: 240E0E82
	s_mov_b32 s56, 0xb000                                      // 000000002D94: BEB800FF 0000B000
	v_add_u32_e32 v6, s56, v6                                  // 000000002D9C: 680C0C38
	v_add_u32_e32 v7, s56, v7                                  // 000000002DA0: 680E0E38
	s_mov_b32 s56, 0x9000                                      // 000000002DA4: BEB800FF 00009000
	v_add_u32_e32 v8, s56, v6                                  // 000000002DAC: 68100C38
	v_add_u32_e32 v9, s56, v7                                  // 000000002DB0: 68120E38
	v_add_u32_e32 v10, s56, v8                                 // 000000002DB4: 68141038
	v_add_u32_e32 v11, s56, v9                                 // 000000002DB8: 68161238
	v_mul_u32_u24_e64 v25, v18, s68                            // 000000002DBC: D1080019 00008912
	v_add_u32_e32 v25, v25, v1                                 // 000000002DC4: 68320319
	s_mov_b32 s56, 0x1d000                                     // 000000002DC8: BEB800FF 0001D000
	s_mul_i32 s57, s7, 0x2400                                  // 000000002DD0: 9239FF07 00002400
	s_add_u32 m0, s56, s57                                     // 000000002DD8: 807C3938
	buffer_load_dwordx4 v25, s[20:23], 0 offen lds             // 000000002DDC: E05D1000 80050019
	s_add_i32 m0, m0, 0x3c0                                    // 000000002DE4: 817CFF7C 000003C0
	buffer_load_dwordx4 v25, s[20:23], 0 offen offset:64 lds   // 000000002DEC: E05D1040 80050019
	s_add_i32 m0, m0, 0x3c0                                    // 000000002DF4: 817CFF7C 000003C0
	buffer_load_dwordx4 v25, s[20:23], 0 offen offset:128 lds  // 000000002DFC: E05D1080 80050019
	s_add_i32 m0, m0, 0x3c0                                    // 000000002E04: 817CFF7C 000003C0
	buffer_load_dwordx4 v25, s[20:23], 0 offen offset:192 lds  // 000000002E0C: E05D10C0 80050019
	s_add_i32 m0, m0, 0x3c0                                    // 000000002E14: 817CFF7C 000003C0
	buffer_load_dwordx4 v25, s[20:23], 0 offen offset:256 lds  // 000000002E1C: E05D1100 80050019
	s_add_i32 m0, m0, 0x3c0                                    // 000000002E24: 817CFF7C 000003C0
	buffer_load_dwordx4 v25, s[20:23], 0 offen offset:320 lds  // 000000002E2C: E05D1140 80050019
	s_add_i32 m0, m0, 0x3c0                                    // 000000002E34: 817CFF7C 000003C0
	buffer_load_dwordx4 v25, s[20:23], 0 offen offset:384 lds  // 000000002E3C: E05D1180 80050019
	s_add_i32 m0, m0, 0x3c0                                    // 000000002E44: 817CFF7C 000003C0
	buffer_load_dwordx4 v25, s[20:23], 0 offen offset:448 lds  // 000000002E4C: E05D11C0 80050019
	s_add_i32 m0, m0, 0x3c0                                    // 000000002E54: 817CFF7C 000003C0
	buffer_load_dwordx4 v25, s[20:23], 0 offen offset:512 lds  // 000000002E5C: E05D1200 80050019
	s_add_i32 m0, m0, 0x3c0                                    // 000000002E64: 817CFF7C 000003C0
	buffer_load_dword v17, v21, s[24:27], 0 offen              // 000000002E6C: E0501000 80061115
	v_add_u32_e32 v21, s73, v21                                // 000000002E74: 682A2A49
	s_waitcnt vmcnt(10)                                        // 000000002E78: BF8C0F7A
	s_barrier                                                  // 000000002E7C: BF8A0000
	s_waitcnt lgkmcnt(0)                                       // 000000002E80: BF8CC07F
	ds_read_b128 a[72:75], v15                                 // 000000002E84: DBFE0000 4800000F
	ds_read_b128 a[76:79], v15 offset:1024                     // 000000002E8C: DBFE0400 4C00000F
	ds_read_b128 a[80:83], v15 offset:2048                     // 000000002E94: DBFE0800 5000000F
	ds_read_b128 a[84:87], v15 offset:3072                     // 000000002E9C: DBFE0C00 5400000F
	ds_read_b128 a[88:91], v15 offset:4096                     // 000000002EA4: DBFE1000 5800000F
	ds_read_b128 a[92:95], v15 offset:5120                     // 000000002EAC: DBFE1400 5C00000F
	ds_read_b128 a[96:99], v15 offset:6144                     // 000000002EB4: DBFE1800 6000000F
	ds_read_b128 a[100:103], v15 offset:7168                   // 000000002EBC: DBFE1C00 6400000F
	ds_read_b128 a[104:107], v15 offset:8192                   // 000000002EC4: DBFE2000 6800000F
	ds_read_b128 a[108:111], v15 offset:9216                   // 000000002ECC: DBFE2400 6C00000F
	ds_read_b128 a[112:115], v15 offset:10240                  // 000000002ED4: DBFE2800 7000000F
	ds_read_b128 a[116:119], v15 offset:11264                  // 000000002EDC: DBFE2C00 7400000F
	ds_read_b128 a[120:123], v15 offset:12288                  // 000000002EE4: DBFE3000 7800000F
	ds_read_b128 a[124:127], v15 offset:13312                  // 000000002EEC: DBFE3400 7C00000F
	ds_read_b128 a[128:131], v15 offset:14336                  // 000000002EF4: DBFE3800 8000000F
	ds_read_b128 a[132:135], v15 offset:15360                  // 000000002EFC: DBFE3C00 8400000F
	ds_read_b128 a[136:139], v15 offset:16384                  // 000000002F04: DBFE4000 8800000F
	ds_read_b128 a[140:143], v15 offset:17408                  // 000000002F0C: DBFE4400 8C00000F
	s_cmp_lt_u32 s71, 1                                        // 000000002F14: BF0A8147
	s_cbranch_scc1 label_4AC8                                  // 000000002F18: BF850FAB
	s_cmp_lt_i32 s7, 2                                         // 000000002F1C: BF048207
	s_cbranch_scc0 label_2B78                                  // 000000002F20: BF8407D5

0000000000002f24 <label_0C24>:
	s_waitcnt lgkmcnt(4)                                       // 000000002F24: BF8CC47F
	v_mfma_f32_16x16x32_bf16 v[26:29], a[72:75], a[0:3], 0     // 000000002F28: D3B5001A 1A020148
	v_mul_u32_u24_e64 v25, v19, s68                            // 000000002F30: D1080019 00008913
	v_add_u32_e32 v25, v25, v1                                 // 000000002F38: 68320319
	buffer_load_dword v18, v21, s[24:27], 0 offen              // 000000002F3C: E0501000 80061215
	ds_read_b128 a[72:75], v15 offset:18432                    // 000000002F44: DBFE4800 4800000F
	v_mfma_f32_16x16x32_bf16 v[26:29], a[76:79], a[4:7], v[26:29]// 000000002F4C: D3B5001A 1C6A094C
	s_mov_b32 s56, 0xb000                                      // 000000002F54: BEB800FF 0000B000
	s_mul_i32 s57, s7, 0x2400                                  // 000000002F5C: 9239FF07 00002400
	s_add_u32 m0, s56, s57                                     // 000000002F64: 807C3938
	buffer_load_dwordx4 v25, s[20:23], 0 offen lds             // 000000002F68: E05D1000 80050019
	s_add_i32 m0, m0, 0x3c0                                    // 000000002F70: 817CFF7C 000003C0
	v_mfma_f32_16x16x32_bf16 v[26:29], a[80:83], a[8:11], v[26:29]// 000000002F78: D3B5001A 1C6A1150
	ds_read_b128 a[76:79], v15 offset:19456                    // 000000002F80: DBFE4C00 4C00000F
	v_mfma_f32_16x16x32_bf16 v[26:29], a[84:87], a[12:15], v[26:29]// 000000002F88: D3B5001A 1C6A1954
	buffer_load_dwordx4 v25, s[20:23], 0 offen offset:64 lds   // 000000002F90: E05D1040 80050019
	s_add_i32 m0, m0, 0x3c0                                    // 000000002F98: 817CFF7C 000003C0
	v_mfma_f32_16x16x32_bf16 v[26:29], a[88:91], a[16:19], v[26:29]// 000000002FA0: D3B5001A 1C6A2158
	ds_read_b128 a[80:83], v15 offset:20480                    // 000000002FA8: DBFE5000 5000000F
	v_mfma_f32_16x16x32_bf16 v[26:29], a[92:95], a[20:23], v[26:29]// 000000002FB0: D3B5001A 1C6A295C
	buffer_load_dwordx4 v25, s[20:23], 0 offen offset:128 lds  // 000000002FB8: E05D1080 80050019
	s_add_i32 m0, m0, 0x3c0                                    // 000000002FC0: 817CFF7C 000003C0
	v_mfma_f32_16x16x32_bf16 v[26:29], a[96:99], a[24:27], v[26:29]// 000000002FC8: D3B5001A 1C6A3160
	ds_read_b128 a[84:87], v15 offset:21504                    // 000000002FD0: DBFE5400 5400000F
	v_mfma_f32_16x16x32_bf16 v[26:29], a[100:103], a[28:31], v[26:29]// 000000002FD8: D3B5001A 1C6A3964
	buffer_load_dwordx4 v25, s[20:23], 0 offen offset:192 lds  // 000000002FE0: E05D10C0 80050019
	s_add_i32 m0, m0, 0x3c0                                    // 000000002FE8: 817CFF7C 000003C0
	v_mfma_f32_16x16x32_bf16 v[26:29], a[104:107], a[32:35], v[26:29]// 000000002FF0: D3B5001A 1C6A4168
	ds_read_b128 a[88:91], v15 offset:22528                    // 000000002FF8: DBFE5800 5800000F
	v_mfma_f32_16x16x32_bf16 v[26:29], a[108:111], a[36:39], v[26:29]// 000000003000: D3B5001A 1C6A496C
	buffer_load_dwordx4 v25, s[20:23], 0 offen offset:256 lds  // 000000003008: E05D1100 80050019
	s_add_i32 m0, m0, 0x3c0                                    // 000000003010: 817CFF7C 000003C0
	v_mfma_f32_16x16x32_bf16 v[26:29], a[112:115], a[40:43], v[26:29]// 000000003018: D3B5001A 1C6A5170
	ds_read_b128 a[92:95], v15 offset:23552                    // 000000003020: DBFE5C00 5C00000F
	v_mfma_f32_16x16x32_bf16 v[26:29], a[116:119], a[44:47], v[26:29]// 000000003028: D3B5001A 1C6A5974
	buffer_load_dwordx4 v25, s[20:23], 0 offen offset:320 lds  // 000000003030: E05D1140 80050019
	s_add_i32 m0, m0, 0x3c0                                    // 000000003038: 817CFF7C 000003C0
	v_mfma_f32_16x16x32_bf16 v[26:29], a[120:123], a[48:51], v[26:29]// 000000003040: D3B5001A 1C6A6178
	ds_read_b128 a[96:99], v15 offset:24576                    // 000000003048: DBFE6000 6000000F
	v_mfma_f32_16x16x32_bf16 v[26:29], a[124:127], a[52:55], v[26:29]// 000000003050: D3B5001A 1C6A697C
	buffer_load_dwordx4 v25, s[20:23], 0 offen offset:384 lds  // 000000003058: E05D1180 80050019
	s_add_i32 m0, m0, 0x3c0                                    // 000000003060: 817CFF7C 000003C0
	v_mfma_f32_16x16x32_bf16 v[26:29], a[128:131], a[56:59], v[26:29]// 000000003068: D3B5001A 1C6A7180
	ds_read_b128 a[100:103], v15 offset:25600                  // 000000003070: DBFE6400 6400000F
	v_mfma_f32_16x16x32_bf16 v[26:29], a[132:135], a[60:63], v[26:29]// 000000003078: D3B5001A 1C6A7984
	buffer_load_dwordx4 v25, s[20:23], 0 offen offset:448 lds  // 000000003080: E05D11C0 80050019
	s_add_i32 m0, m0, 0x3c0                                    // 000000003088: 817CFF7C 000003C0
	v_mfma_f32_16x16x32_bf16 v[26:29], a[136:139], a[64:67], v[26:29]// 000000003090: D3B5001A 1C6A8188
	ds_read_b128 a[104:107], v15 offset:26624                  // 000000003098: DBFE6800 6800000F
	v_mfma_f32_16x16x32_bf16 v[26:29], a[140:143], a[68:71], v[26:29]// 0000000030A0: D3B5001A 1C6A898C
	buffer_load_dwordx4 v25, s[20:23], 0 offen offset:512 lds  // 0000000030A8: E05D1200 80050019
	s_add_i32 m0, m0, 0x3c0                                    // 0000000030B0: 817CFF7C 000003C0
	ds_read_b128 a[108:111], v15 offset:27648                  // 0000000030B8: DBFE6C00 6C00000F
	ds_read_b128 a[112:115], v15 offset:28672                  // 0000000030C0: DBFE7000 7000000F
	ds_read_b128 a[116:119], v15 offset:29696                  // 0000000030C8: DBFE7400 7400000F
	ds_read_b128 a[120:123], v15 offset:30720                  // 0000000030D0: DBFE7800 7800000F
	ds_read_b128 a[124:127], v15 offset:31744                  // 0000000030D8: DBFE7C00 7C00000F
	ds_read_b128 a[128:131], v15 offset:32768                  // 0000000030E0: DBFE8000 8000000F
	ds_read_b128 a[132:135], v15 offset:33792                  // 0000000030E8: DBFE8400 8400000F
	ds_read_b128 a[136:139], v15 offset:34816                  // 0000000030F0: DBFE8800 8800000F
	ds_read_b128 a[140:143], v15 offset:35840                  // 0000000030F8: DBFE8C00 8C00000F
	v_add_u32_e32 v21, s73, v21                                // 000000003100: 682A2A49
	s_waitcnt lgkmcnt(4)                                       // 000000003104: BF8CC47F
	v_mfma_f32_16x16x32_bf16 v[30:33], a[72:75], a[0:3], 0     // 000000003108: D3B5001E 1A020148
	ds_read_b64_tr_b16 a[144:145], v8                          // 000000003110: DBC60000 90000008
	ds_read_b64_tr_b16 a[146:147], v8 offset:256               // 000000003118: DBC60100 92000008
	ds_read_b64_tr_b16 a[148:149], v9                          // 000000003120: DBC60000 94000009
	ds_read_b64_tr_b16 a[150:151], v9 offset:256               // 000000003128: DBC60100 96000009
	v_mfma_f32_16x16x32_bf16 v[30:33], a[76:79], a[4:7], v[30:33]// 000000003130: D3B5001E 1C7A094C
	v_mfma_f32_16x16x32_bf16 v[30:33], a[80:83], a[8:11], v[30:33]// 000000003138: D3B5001E 1C7A1150
	ds_read_b64_tr_b16 a[152:153], v8 offset:1024              // 000000003140: DBC60400 98000008
	ds_read_b64_tr_b16 a[154:155], v8 offset:1280              // 000000003148: DBC60500 9A000008
	ds_read_b64_tr_b16 a[156:157], v9 offset:1024              // 000000003150: DBC60400 9C000009
	ds_read_b64_tr_b16 a[158:159], v9 offset:1280              // 000000003158: DBC60500 9E000009
	v_mfma_f32_16x16x32_bf16 v[30:33], a[84:87], a[12:15], v[30:33]// 000000003160: D3B5001E 1C7A1954
	v_mfma_f32_16x16x32_bf16 v[30:33], a[88:91], a[16:19], v[30:33]// 000000003168: D3B5001E 1C7A2158
	ds_read_b64_tr_b16 a[160:161], v8 offset:2048              // 000000003170: DBC60800 A0000008
	ds_read_b64_tr_b16 a[162:163], v8 offset:2304              // 000000003178: DBC60900 A2000008
	ds_read_b64_tr_b16 a[164:165], v9 offset:2048              // 000000003180: DBC60800 A4000009
	ds_read_b64_tr_b16 a[166:167], v9 offset:2304              // 000000003188: DBC60900 A6000009
	v_mfma_f32_16x16x32_bf16 v[30:33], a[92:95], a[20:23], v[30:33]// 000000003190: D3B5001E 1C7A295C
	v_mfma_f32_16x16x32_bf16 v[30:33], a[96:99], a[24:27], v[30:33]// 000000003198: D3B5001E 1C7A3160
	ds_read_b64_tr_b16 a[168:169], v8 offset:3072              // 0000000031A0: DBC60C00 A8000008
	ds_read_b64_tr_b16 a[170:171], v8 offset:3328              // 0000000031A8: DBC60D00 AA000008
	ds_read_b64_tr_b16 a[172:173], v9 offset:3072              // 0000000031B0: DBC60C00 AC000009
	ds_read_b64_tr_b16 a[174:175], v9 offset:3328              // 0000000031B8: DBC60D00 AE000009
	v_mfma_f32_16x16x32_bf16 v[30:33], a[100:103], a[28:31], v[30:33]// 0000000031C0: D3B5001E 1C7A3964
	v_mfma_f32_16x16x32_bf16 v[30:33], a[104:107], a[32:35], v[30:33]// 0000000031C8: D3B5001E 1C7A4168
	ds_read_b64_tr_b16 a[176:177], v8 offset:4096              // 0000000031D0: DBC61000 B0000008
	ds_read_b64_tr_b16 a[178:179], v8 offset:4352              // 0000000031D8: DBC61100 B2000008
	ds_read_b64_tr_b16 a[180:181], v9 offset:4096              // 0000000031E0: DBC61000 B4000009
	ds_read_b64_tr_b16 a[182:183], v9 offset:4352              // 0000000031E8: DBC61100 B6000009
	v_mfma_f32_16x16x32_bf16 v[30:33], a[108:111], a[36:39], v[30:33]// 0000000031F0: D3B5001E 1C7A496C
	v_mfma_f32_16x16x32_bf16 v[30:33], a[112:115], a[40:43], v[30:33]// 0000000031F8: D3B5001E 1C7A5170
	ds_read_b64_tr_b16 a[184:185], v8 offset:5120              // 000000003200: DBC61400 B8000008
	ds_read_b64_tr_b16 a[186:187], v8 offset:5376              // 000000003208: DBC61500 BA000008
	ds_read_b64_tr_b16 a[188:189], v9 offset:5120              // 000000003210: DBC61400 BC000009
	ds_read_b64_tr_b16 a[190:191], v9 offset:5376              // 000000003218: DBC61500 BE000009
	v_mfma_f32_16x16x32_bf16 v[30:33], a[116:119], a[44:47], v[30:33]// 000000003220: D3B5001E 1C7A5974
	v_mfma_f32_16x16x32_bf16 v[30:33], a[120:123], a[48:51], v[30:33]// 000000003228: D3B5001E 1C7A6178
	ds_read_b64_tr_b16 a[192:193], v8 offset:6144              // 000000003230: DBC61800 C0000008
	ds_read_b64_tr_b16 a[194:195], v8 offset:6400              // 000000003238: DBC61900 C2000008
	ds_read_b64_tr_b16 a[196:197], v9 offset:6144              // 000000003240: DBC61800 C4000009
	ds_read_b64_tr_b16 a[198:199], v9 offset:6400              // 000000003248: DBC61900 C6000009
	v_mfma_f32_16x16x32_bf16 v[30:33], a[124:127], a[52:55], v[30:33]// 000000003250: D3B5001E 1C7A697C
	v_mfma_f32_16x16x32_bf16 v[30:33], a[128:131], a[56:59], v[30:33]// 000000003258: D3B5001E 1C7A7180
	ds_read_b64_tr_b16 a[200:201], v8 offset:7168              // 000000003260: DBC61C00 C8000008
	ds_read_b64_tr_b16 a[202:203], v8 offset:7424              // 000000003268: DBC61D00 CA000008
	ds_read_b64_tr_b16 a[204:205], v9 offset:7168              // 000000003270: DBC61C00 CC000009
	ds_read_b64_tr_b16 a[206:207], v9 offset:7424              // 000000003278: DBC61D00 CE000009
	v_mfma_f32_16x16x32_bf16 v[30:33], a[132:135], a[60:63], v[30:33]// 000000003280: D3B5001E 1C7A7984
	v_mfma_f32_16x16x32_bf16 v[30:33], a[136:139], a[64:67], v[30:33]// 000000003288: D3B5001E 1C7A8188
	v_mfma_f32_16x16x32_bf16 v[30:33], a[140:143], a[68:71], v[30:33]// 000000003290: D3B5001E 1C7A898C
	s_cmp_le_i32 s83, s82                                      // 000000003298: BF055253
	s_cbranch_scc1 label_1094                                  // 00000000329C: BF85003D
	v_mov_b32_e32 v22, s82                                     // 0000000032A0: 7E2C0252
	s_sub_u32 s58, s81, s80                                    // 0000000032A4: 80BA5051
	s_add_u32 s58, s58, s7                                     // 0000000032A8: 803A073A
	v_add_u32_e32 v22, s58, v22                                // 0000000032AC: 682C2C3A
	s_sub_u32 s56, s83, 31                                     // 0000000032B0: 80B89F53
	v_lshrrev_b32_e32 v162, 4, v0                              // 0000000032B4: 21440084
	v_mul_i32_i24_e32 v162, 4, v162                            // 0000000032B8: 0D454484
	v_add_u32_e32 v162, s56, v162                              // 0000000032BC: 69454438
	v_add_u32_e32 v163, 1, v162                                // 0000000032C0: 69474481
	v_add_u32_e32 v164, 2, v162                                // 0000000032C4: 69494482
	v_add_u32_e32 v165, 3, v162                                // 0000000032C8: 694B4483
	v_mov_b32_e32 v23, 0xff800000                              // 0000000032CC: 7E2E02FF FF800000
	v_cmp_le_u32_e64 s[36:37], v162, v22                       // 0000000032D4: D0CB0024 00022DA2
	v_add_u32_e32 v162, 16, v162                               // 0000000032DC: 69454490
	s_nop 0                                                    // 0000000032E0: BF800000
	v_cndmask_b32_e64 v26, v23, v26, s[36:37]                  // 0000000032E4: D100001A 00923517
	v_cmp_le_u32_e64 s[36:37], v163, v22                       // 0000000032EC: D0CB0024 00022DA3
	v_add_u32_e32 v163, 16, v163                               // 0000000032F4: 69474690
	s_nop 0                                                    // 0000000032F8: BF800000
	v_cndmask_b32_e64 v27, v23, v27, s[36:37]                  // 0000000032FC: D100001B 00923717
	v_cmp_le_u32_e64 s[36:37], v164, v22                       // 000000003304: D0CB0024 00022DA4
	v_add_u32_e32 v164, 16, v164                               // 00000000330C: 69494890
	s_nop 0                                                    // 000000003310: BF800000
	v_cndmask_b32_e64 v28, v23, v28, s[36:37]                  // 000000003314: D100001C 00923917
	v_cmp_le_u32_e64 s[36:37], v165, v22                       // 00000000331C: D0CB0024 00022DA5
	v_add_u32_e32 v165, 16, v165                               // 000000003324: 694B4A90
	s_nop 0                                                    // 000000003328: BF800000
	v_cndmask_b32_e64 v29, v23, v29, s[36:37]                  // 00000000332C: D100001D 00923B17
	v_cmp_le_u32_e64 s[36:37], v162, v22                       // 000000003334: D0CB0024 00022DA2
	v_add_u32_e32 v162, 16, v162                               // 00000000333C: 69454490
	s_nop 0                                                    // 000000003340: BF800000
	v_cndmask_b32_e64 v30, v23, v30, s[36:37]                  // 000000003344: D100001E 00923D17
	v_cmp_le_u32_e64 s[36:37], v163, v22                       // 00000000334C: D0CB0024 00022DA3
	v_add_u32_e32 v163, 16, v163                               // 000000003354: 69474690
	s_nop 0                                                    // 000000003358: BF800000
	v_cndmask_b32_e64 v31, v23, v31, s[36:37]                  // 00000000335C: D100001F 00923F17
	v_cmp_le_u32_e64 s[36:37], v164, v22                       // 000000003364: D0CB0024 00022DA4
	v_add_u32_e32 v164, 16, v164                               // 00000000336C: 69494890
	s_nop 0                                                    // 000000003370: BF800000
	v_cndmask_b32_e64 v32, v23, v32, s[36:37]                  // 000000003374: D1000020 00924117
	v_cmp_le_u32_e64 s[36:37], v165, v22                       // 00000000337C: D0CB0024 00022DA5
	v_add_u32_e32 v165, 16, v165                               // 000000003384: 694B4A90
	s_nop 0                                                    // 000000003388: BF800000
	v_cndmask_b32_e64 v33, v23, v33, s[36:37]                  // 00000000338C: D1000021 00924317

0000000000003394 <label_1094>:
	s_add_u32 s83, s84, s83                                    // 000000003394: 80535354
	s_nop 2                                                    // 000000003398: BF800002
	v_mov_b32_e32 v23, v26                                     // 00000000339C: 7E2E031A
	v_max3_f32 v23, v26, v27, v23                              // 0000000033A0: D1D30017 045E371A
	v_max3_f32 v23, v28, v29, v23                              // 0000000033A8: D1D30017 045E3B1C
	v_max3_f32 v23, v30, v31, v23                              // 0000000033B0: D1D30017 045E3F1E
	v_max3_f32 v23, v32, v33, v23                              // 0000000033B8: D1D30017 045E4320
	v_mov_b32_e32 v22, v23                                     // 0000000033C0: 7E2C0317
	v_mov_b32_e32 v23, v23                                     // 0000000033C4: 7E2E0317
	s_nop 1                                                    // 0000000033C8: BF800001
	v_permlane16_swap_b32_e32 v22, v23                         // 0000000033CC: 7E2CB317
	v_mov_b32_e32 v25, v22                                     // 0000000033D0: 7E320316
	v_mov_b32_e32 v24, v23                                     // 0000000033D4: 7E300317
	s_nop 1                                                    // 0000000033D8: BF800001
	v_permlane32_swap_b32_e32 v22, v23                         // 0000000033DC: 7E2CB517
	v_permlane32_swap_b32_e32 v24, v25                         // 0000000033E0: 7E30B519
	v_max3_f32 v23, v22, v23, v23                              // 0000000033E4: D1D30017 045E2F16
	v_max3_f32 v23, v24, v25, v23                              // 0000000033EC: D1D30017 045E3318
	v_mov_b32_e32 v22, 0xff800000                              // 0000000033F4: 7E2C02FF FF800000
	v_cmp_eq_u32_e64 s[36:37], v22, v2                         // 0000000033FC: D0CA0024 00020516
	v_max_f32_e32 v23, v23, v2                                 // 000000003404: 162E0517
	v_sub_f32_e32 v12, v2, v23                                 // 000000003408: 04182F02
	v_cndmask_b32_e64 v12, v12, 0, s[36:37]                    // 00000000340C: D100000C 0091010C
	v_mov_b32_e32 v2, v23                                      // 000000003414: 7E040317
	v_mul_f32_e32 v23, s5, v23                                 // 000000003418: 0A2E2E05
	v_mul_f32_e32 v12, s5, v12                                 // 00000000341C: 0A181805
	v_exp_f32_e32 v12, v12                                     // 000000003420: 7E18410C
	v_fma_f32 v26, v26, s5, -v23                               // 000000003424: D1CB001A 845C0B1A
	v_fma_f32 v27, v27, s5, -v23                               // 00000000342C: D1CB001B 845C0B1B
	v_fma_f32 v28, v28, s5, -v23                               // 000000003434: D1CB001C 845C0B1C
	v_fma_f32 v29, v29, s5, -v23                               // 00000000343C: D1CB001D 845C0B1D
	v_fma_f32 v30, v30, s5, -v23                               // 000000003444: D1CB001E 845C0B1E
	v_fma_f32 v31, v31, s5, -v23                               // 00000000344C: D1CB001F 845C0B1F
	v_fma_f32 v32, v32, s5, -v23                               // 000000003454: D1CB0020 845C0B20
	v_fma_f32 v33, v33, s5, -v23                               // 00000000345C: D1CB0021 845C0B21
	v_exp_f32_e32 v26, v26                                     // 000000003464: 7E34411A
	v_exp_f32_e32 v27, v27                                     // 000000003468: 7E36411B
	v_exp_f32_e32 v28, v28                                     // 00000000346C: 7E38411C
	v_exp_f32_e32 v29, v29                                     // 000000003470: 7E3A411D
	v_exp_f32_e32 v30, v30                                     // 000000003474: 7E3C411E
	v_exp_f32_e32 v31, v31                                     // 000000003478: 7E3E411F
	v_exp_f32_e32 v32, v32                                     // 00000000347C: 7E404120
	v_exp_f32_e32 v33, v33                                     // 000000003480: 7E424121
	v_mul_f32_e32 v4, v12, v4                                  // 000000003484: 0A08090C
	v_mov_b32_e32 v22, v26                                     // 000000003488: 7E2C031A
	v_add_f32_e32 v22, v27, v22                                // 00000000348C: 022C2D1B
	v_add_f32_e32 v22, v28, v22                                // 000000003490: 022C2D1C
	v_add_f32_e32 v22, v29, v22                                // 000000003494: 022C2D1D
	v_add_f32_e32 v22, v30, v22                                // 000000003498: 022C2D1E
	v_add_f32_e32 v22, v31, v22                                // 00000000349C: 022C2D1F
	v_add_f32_e32 v22, v32, v22                                // 0000000034A0: 022C2D20
	v_add_f32_e32 v22, v33, v22                                // 0000000034A4: 022C2D21
	v_add_f32_e32 v4, v22, v4                                  // 0000000034A8: 02080916
	v_cvt_pk_bf16_f32 v26, v26, v27                            // 0000000034AC: D268001A 0002371A
	v_cvt_pk_bf16_f32 v27, v28, v29                            // 0000000034B4: D268001B 00023B1C
	v_cvt_pk_bf16_f32 v28, v30, v31                            // 0000000034BC: D268001C 00023F1E
	v_cvt_pk_bf16_f32 v29, v32, v33                            // 0000000034C4: D268001D 00024320
	s_nop 0                                                    // 0000000034CC: BF800000
	v_permlane32_swap_b32_e32 v26, v28                         // 0000000034D0: 7E34B51C
	v_permlane32_swap_b32_e32 v27, v29                         // 0000000034D4: 7E36B51D
	s_nop 0                                                    // 0000000034D8: BF800000
	v_permlane16_swap_b32_e32 v26, v28                         // 0000000034DC: 7E34B31C
	v_permlane16_swap_b32_e32 v27, v29                         // 0000000034E0: 7E36B31D
	v_mul_f32_e32 v34, v12, v34                                // 0000000034E4: 0A44450C
	v_mul_f32_e32 v35, v12, v35                                // 0000000034E8: 0A46470C
	v_mul_f32_e32 v36, v12, v36                                // 0000000034EC: 0A48490C
	v_mul_f32_e32 v37, v12, v37                                // 0000000034F0: 0A4A4B0C
	v_mul_f32_e32 v38, v12, v38                                // 0000000034F4: 0A4C4D0C
	v_mul_f32_e32 v39, v12, v39                                // 0000000034F8: 0A4E4F0C
	v_mul_f32_e32 v40, v12, v40                                // 0000000034FC: 0A50510C
	v_mul_f32_e32 v41, v12, v41                                // 000000003500: 0A52530C
	v_mul_f32_e32 v42, v12, v42                                // 000000003504: 0A54550C
	v_mul_f32_e32 v43, v12, v43                                // 000000003508: 0A56570C
	v_mul_f32_e32 v44, v12, v44                                // 00000000350C: 0A58590C
	v_mul_f32_e32 v45, v12, v45                                // 000000003510: 0A5A5B0C
	v_mul_f32_e32 v46, v12, v46                                // 000000003514: 0A5C5D0C
	v_mul_f32_e32 v47, v12, v47                                // 000000003518: 0A5E5F0C
	v_mul_f32_e32 v48, v12, v48                                // 00000000351C: 0A60610C
	v_mul_f32_e32 v49, v12, v49                                // 000000003520: 0A62630C
	v_mul_f32_e32 v50, v12, v50                                // 000000003524: 0A64650C
	v_mul_f32_e32 v51, v12, v51                                // 000000003528: 0A66670C
	v_mul_f32_e32 v52, v12, v52                                // 00000000352C: 0A68690C
	v_mul_f32_e32 v53, v12, v53                                // 000000003530: 0A6A6B0C
	v_mul_f32_e32 v54, v12, v54                                // 000000003534: 0A6C6D0C
	v_mul_f32_e32 v55, v12, v55                                // 000000003538: 0A6E6F0C
	v_mul_f32_e32 v56, v12, v56                                // 00000000353C: 0A70710C
	v_mul_f32_e32 v57, v12, v57                                // 000000003540: 0A72730C
	v_mul_f32_e32 v58, v12, v58                                // 000000003544: 0A74750C
	v_mul_f32_e32 v59, v12, v59                                // 000000003548: 0A76770C
	v_mul_f32_e32 v60, v12, v60                                // 00000000354C: 0A78790C
	v_mul_f32_e32 v61, v12, v61                                // 000000003550: 0A7A7B0C
	v_mul_f32_e32 v62, v12, v62                                // 000000003554: 0A7C7D0C
	v_mul_f32_e32 v63, v12, v63                                // 000000003558: 0A7E7F0C
	v_mul_f32_e32 v64, v12, v64                                // 00000000355C: 0A80810C
	v_mul_f32_e32 v65, v12, v65                                // 000000003560: 0A82830C
	v_mul_f32_e32 v66, v12, v66                                // 000000003564: 0A84850C
	v_mul_f32_e32 v67, v12, v67                                // 000000003568: 0A86870C
	v_mul_f32_e32 v68, v12, v68                                // 00000000356C: 0A88890C
	v_mul_f32_e32 v69, v12, v69                                // 000000003570: 0A8A8B0C
	v_mul_f32_e32 v70, v12, v70                                // 000000003574: 0A8C8D0C
	v_mul_f32_e32 v71, v12, v71                                // 000000003578: 0A8E8F0C
	v_mul_f32_e32 v72, v12, v72                                // 00000000357C: 0A90910C
	v_mul_f32_e32 v73, v12, v73                                // 000000003580: 0A92930C
	v_mul_f32_e32 v74, v12, v74                                // 000000003584: 0A94950C
	v_mul_f32_e32 v75, v12, v75                                // 000000003588: 0A96970C
	v_mul_f32_e32 v76, v12, v76                                // 00000000358C: 0A98990C
	v_mul_f32_e32 v77, v12, v77                                // 000000003590: 0A9A9B0C
	v_mul_f32_e32 v78, v12, v78                                // 000000003594: 0A9C9D0C
	v_mul_f32_e32 v79, v12, v79                                // 000000003598: 0A9E9F0C
	v_mul_f32_e32 v80, v12, v80                                // 00000000359C: 0AA0A10C
	v_mul_f32_e32 v81, v12, v81                                // 0000000035A0: 0AA2A30C
	v_mul_f32_e32 v82, v12, v82                                // 0000000035A4: 0AA4A50C
	v_mul_f32_e32 v83, v12, v83                                // 0000000035A8: 0AA6A70C
	v_mul_f32_e32 v84, v12, v84                                // 0000000035AC: 0AA8A90C
	v_mul_f32_e32 v85, v12, v85                                // 0000000035B0: 0AAAAB0C
	v_mul_f32_e32 v86, v12, v86                                // 0000000035B4: 0AACAD0C
	v_mul_f32_e32 v87, v12, v87                                // 0000000035B8: 0AAEAF0C
	v_mul_f32_e32 v88, v12, v88                                // 0000000035BC: 0AB0B10C
	v_mul_f32_e32 v89, v12, v89                                // 0000000035C0: 0AB2B30C
	v_mul_f32_e32 v90, v12, v90                                // 0000000035C4: 0AB4B50C
	v_mul_f32_e32 v91, v12, v91                                // 0000000035C8: 0AB6B70C
	v_mul_f32_e32 v92, v12, v92                                // 0000000035CC: 0AB8B90C
	v_mul_f32_e32 v93, v12, v93                                // 0000000035D0: 0ABABB0C
	v_mul_f32_e32 v94, v12, v94                                // 0000000035D4: 0ABCBD0C
	v_mul_f32_e32 v95, v12, v95                                // 0000000035D8: 0ABEBF0C
	v_mul_f32_e32 v96, v12, v96                                // 0000000035DC: 0AC0C10C
	v_mul_f32_e32 v97, v12, v97                                // 0000000035E0: 0AC2C30C
	v_mul_f32_e32 v98, v12, v98                                // 0000000035E4: 0AC4C50C
	v_mul_f32_e32 v99, v12, v99                                // 0000000035E8: 0AC6C70C
	v_mul_f32_e32 v100, v12, v100                              // 0000000035EC: 0AC8C90C
	v_mul_f32_e32 v101, v12, v101                              // 0000000035F0: 0ACACB0C
	v_mul_f32_e32 v102, v12, v102                              // 0000000035F4: 0ACCCD0C
	v_mul_f32_e32 v103, v12, v103                              // 0000000035F8: 0ACECF0C
	v_mul_f32_e32 v104, v12, v104                              // 0000000035FC: 0AD0D10C
	v_mul_f32_e32 v105, v12, v105                              // 000000003600: 0AD2D30C
	v_mul_f32_e32 v106, v12, v106                              // 000000003604: 0AD4D50C
	v_mul_f32_e32 v107, v12, v107                              // 000000003608: 0AD6D70C
	v_mul_f32_e32 v108, v12, v108                              // 00000000360C: 0AD8D90C
	v_mul_f32_e32 v109, v12, v109                              // 000000003610: 0ADADB0C
	v_mul_f32_e32 v110, v12, v110                              // 000000003614: 0ADCDD0C
	v_mul_f32_e32 v111, v12, v111                              // 000000003618: 0ADEDF0C
	v_mul_f32_e32 v112, v12, v112                              // 00000000361C: 0AE0E10C
	v_mul_f32_e32 v113, v12, v113                              // 000000003620: 0AE2E30C
	v_mul_f32_e32 v114, v12, v114                              // 000000003624: 0AE4E50C
	v_mul_f32_e32 v115, v12, v115                              // 000000003628: 0AE6E70C
	v_mul_f32_e32 v116, v12, v116                              // 00000000362C: 0AE8E90C
	v_mul_f32_e32 v117, v12, v117                              // 000000003630: 0AEAEB0C
	v_mul_f32_e32 v118, v12, v118                              // 000000003634: 0AECED0C
	v_mul_f32_e32 v119, v12, v119                              // 000000003638: 0AEEEF0C
	v_mul_f32_e32 v120, v12, v120                              // 00000000363C: 0AF0F10C
	v_mul_f32_e32 v121, v12, v121                              // 000000003640: 0AF2F30C
	v_mul_f32_e32 v122, v12, v122                              // 000000003644: 0AF4F50C
	v_mul_f32_e32 v123, v12, v123                              // 000000003648: 0AF6F70C
	v_mul_f32_e32 v124, v12, v124                              // 00000000364C: 0AF8F90C
	v_mul_f32_e32 v125, v12, v125                              // 000000003650: 0AFAFB0C
	v_mul_f32_e32 v126, v12, v126                              // 000000003654: 0AFCFD0C
	v_mul_f32_e32 v127, v12, v127                              // 000000003658: 0AFEFF0C
	v_mul_f32_e32 v128, v12, v128                              // 00000000365C: 0B01010C
	v_mul_f32_e32 v129, v12, v129                              // 000000003660: 0B03030C
	v_mul_f32_e32 v130, v12, v130                              // 000000003664: 0B05050C
	v_mul_f32_e32 v131, v12, v131                              // 000000003668: 0B07070C
	v_mul_f32_e32 v132, v12, v132                              // 00000000366C: 0B09090C
	v_mul_f32_e32 v133, v12, v133                              // 000000003670: 0B0B0B0C
	v_mul_f32_e32 v134, v12, v134                              // 000000003674: 0B0D0D0C
	v_mul_f32_e32 v135, v12, v135                              // 000000003678: 0B0F0F0C
	v_mul_f32_e32 v136, v12, v136                              // 00000000367C: 0B11110C
	v_mul_f32_e32 v137, v12, v137                              // 000000003680: 0B13130C
	v_mul_f32_e32 v138, v12, v138                              // 000000003684: 0B15150C
	v_mul_f32_e32 v139, v12, v139                              // 000000003688: 0B17170C
	v_mul_f32_e32 v140, v12, v140                              // 00000000368C: 0B19190C
	v_mul_f32_e32 v141, v12, v141                              // 000000003690: 0B1B1B0C
	v_mul_f32_e32 v142, v12, v142                              // 000000003694: 0B1D1D0C
	v_mul_f32_e32 v143, v12, v143                              // 000000003698: 0B1F1F0C
	v_mul_f32_e32 v144, v12, v144                              // 00000000369C: 0B21210C
	v_mul_f32_e32 v145, v12, v145                              // 0000000036A0: 0B23230C
	v_mul_f32_e32 v146, v12, v146                              // 0000000036A4: 0B25250C
	v_mul_f32_e32 v147, v12, v147                              // 0000000036A8: 0B27270C
	v_mul_f32_e32 v148, v12, v148                              // 0000000036AC: 0B29290C
	v_mul_f32_e32 v149, v12, v149                              // 0000000036B0: 0B2B2B0C
	v_mul_f32_e32 v150, v12, v150                              // 0000000036B4: 0B2D2D0C
	v_mul_f32_e32 v151, v12, v151                              // 0000000036B8: 0B2F2F0C
	v_mul_f32_e32 v152, v12, v152                              // 0000000036BC: 0B31310C
	v_mul_f32_e32 v153, v12, v153                              // 0000000036C0: 0B33330C
	v_mul_f32_e32 v154, v12, v154                              // 0000000036C4: 0B35350C
	v_mul_f32_e32 v155, v12, v155                              // 0000000036C8: 0B37370C
	v_mul_f32_e32 v156, v12, v156                              // 0000000036CC: 0B39390C
	v_mul_f32_e32 v157, v12, v157                              // 0000000036D0: 0B3B3B0C
	v_mul_f32_e32 v158, v12, v158                              // 0000000036D4: 0B3D3D0C
	v_mul_f32_e32 v159, v12, v159                              // 0000000036D8: 0B3F3F0C
	v_mul_f32_e32 v160, v12, v160                              // 0000000036DC: 0B41410C
	v_mul_f32_e32 v161, v12, v161                              // 0000000036E0: 0B43430C
	s_waitcnt lgkmcnt(0)                                       // 0000000036E4: BF8CC07F
	v_mfma_f32_16x16x32_bf16 v[34:37], a[144:147], v[26:29], v[34:37]// 0000000036E8: D3B50022 0C8A3590
	v_mfma_f32_16x16x32_bf16 v[38:41], a[148:151], v[26:29], v[38:41]// 0000000036F0: D3B50026 0C9A3594
	v_mfma_f32_16x16x32_bf16 v[42:45], a[152:155], v[26:29], v[42:45]// 0000000036F8: D3B5002A 0CAA3598
	v_mfma_f32_16x16x32_bf16 v[46:49], a[156:159], v[26:29], v[46:49]// 000000003700: D3B5002E 0CBA359C
	v_mfma_f32_16x16x32_bf16 v[50:53], a[160:163], v[26:29], v[50:53]// 000000003708: D3B50032 0CCA35A0
	v_mfma_f32_16x16x32_bf16 v[54:57], a[164:167], v[26:29], v[54:57]// 000000003710: D3B50036 0CDA35A4
	v_mfma_f32_16x16x32_bf16 v[58:61], a[168:171], v[26:29], v[58:61]// 000000003718: D3B5003A 0CEA35A8
	v_mfma_f32_16x16x32_bf16 v[62:65], a[172:175], v[26:29], v[62:65]// 000000003720: D3B5003E 0CFA35AC
	v_mfma_f32_16x16x32_bf16 v[66:69], a[176:179], v[26:29], v[66:69]// 000000003728: D3B50042 0D0A35B0
	v_mfma_f32_16x16x32_bf16 v[70:73], a[180:183], v[26:29], v[70:73]// 000000003730: D3B50046 0D1A35B4
	v_mfma_f32_16x16x32_bf16 v[74:77], a[184:187], v[26:29], v[74:77]// 000000003738: D3B5004A 0D2A35B8
	ds_read_b64_tr_b16 a[144:145], v8 offset:8192              // 000000003740: DBC62000 90000008
	ds_read_b64_tr_b16 a[146:147], v8 offset:8448              // 000000003748: DBC62100 92000008
	ds_read_b64_tr_b16 a[148:149], v9 offset:8192              // 000000003750: DBC62000 94000009
	ds_read_b64_tr_b16 a[150:151], v9 offset:8448              // 000000003758: DBC62100 96000009
	v_mfma_f32_16x16x32_bf16 v[78:81], a[188:191], v[26:29], v[78:81]// 000000003760: D3B5004E 0D3A35BC
	ds_read_b64_tr_b16 a[152:153], v8 offset:9216              // 000000003768: DBC62400 98000008
	ds_read_b64_tr_b16 a[154:155], v8 offset:9472              // 000000003770: DBC62500 9A000008
	ds_read_b64_tr_b16 a[156:157], v9 offset:9216              // 000000003778: DBC62400 9C000009
	ds_read_b64_tr_b16 a[158:159], v9 offset:9472              // 000000003780: DBC62500 9E000009
	v_mfma_f32_16x16x32_bf16 v[82:85], a[192:195], v[26:29], v[82:85]// 000000003788: D3B50052 0D4A35C0
	ds_read_b64_tr_b16 a[160:161], v8 offset:10240             // 000000003790: DBC62800 A0000008
	ds_read_b64_tr_b16 a[162:163], v8 offset:10496             // 000000003798: DBC62900 A2000008
	ds_read_b64_tr_b16 a[164:165], v9 offset:10240             // 0000000037A0: DBC62800 A4000009
	ds_read_b64_tr_b16 a[166:167], v9 offset:10496             // 0000000037A8: DBC62900 A6000009
	v_mfma_f32_16x16x32_bf16 v[86:89], a[196:199], v[26:29], v[86:89]// 0000000037B0: D3B50056 0D5A35C4
	ds_read_b64_tr_b16 a[168:169], v8 offset:11264             // 0000000037B8: DBC62C00 A8000008
	ds_read_b64_tr_b16 a[170:171], v8 offset:11520             // 0000000037C0: DBC62D00 AA000008
	ds_read_b64_tr_b16 a[172:173], v9 offset:11264             // 0000000037C8: DBC62C00 AC000009
	ds_read_b64_tr_b16 a[174:175], v9 offset:11520             // 0000000037D0: DBC62D00 AE000009
	v_mfma_f32_16x16x32_bf16 v[90:93], a[200:203], v[26:29], v[90:93]// 0000000037D8: D3B5005A 0D6A35C8
	ds_read_b64_tr_b16 a[176:177], v8 offset:12288             // 0000000037E0: DBC63000 B0000008
	ds_read_b64_tr_b16 a[178:179], v8 offset:12544             // 0000000037E8: DBC63100 B2000008
	ds_read_b64_tr_b16 a[180:181], v9 offset:12288             // 0000000037F0: DBC63000 B4000009
	ds_read_b64_tr_b16 a[182:183], v9 offset:12544             // 0000000037F8: DBC63100 B6000009
	v_mfma_f32_16x16x32_bf16 v[94:97], a[204:207], v[26:29], v[94:97]// 000000003800: D3B5005E 0D7A35CC
	ds_read_b64_tr_b16 a[184:185], v8 offset:13312             // 000000003808: DBC63400 B8000008
	ds_read_b64_tr_b16 a[186:187], v8 offset:13568             // 000000003810: DBC63500 BA000008
	ds_read_b64_tr_b16 a[188:189], v9 offset:13312             // 000000003818: DBC63400 BC000009
	ds_read_b64_tr_b16 a[190:191], v9 offset:13568             // 000000003820: DBC63500 BE000009
	ds_read_b64_tr_b16 a[192:193], v8 offset:14336             // 000000003828: DBC63800 C0000008
	ds_read_b64_tr_b16 a[194:195], v8 offset:14592             // 000000003830: DBC63900 C2000008
	ds_read_b64_tr_b16 a[196:197], v9 offset:14336             // 000000003838: DBC63800 C4000009
	ds_read_b64_tr_b16 a[198:199], v9 offset:14592             // 000000003840: DBC63900 C6000009
	ds_read_b64_tr_b16 a[200:201], v8 offset:15360             // 000000003848: DBC63C00 C8000008
	ds_read_b64_tr_b16 a[202:203], v8 offset:15616             // 000000003850: DBC63D00 CA000008
	ds_read_b64_tr_b16 a[204:205], v9 offset:15360             // 000000003858: DBC63C00 CC000009
	ds_read_b64_tr_b16 a[206:207], v9 offset:15616             // 000000003860: DBC63D00 CE000009
	s_waitcnt lgkmcnt(0)                                       // 000000003868: BF8CC07F
	v_mfma_f32_16x16x32_bf16 v[98:101], a[144:147], v[26:29], v[98:101]// 00000000386C: D3B50062 0D8A3590
	v_mfma_f32_16x16x32_bf16 v[102:105], a[148:151], v[26:29], v[102:105]// 000000003874: D3B50066 0D9A3594
	v_mfma_f32_16x16x32_bf16 v[106:109], a[152:155], v[26:29], v[106:109]// 00000000387C: D3B5006A 0DAA3598
	v_mfma_f32_16x16x32_bf16 v[110:113], a[156:159], v[26:29], v[110:113]// 000000003884: D3B5006E 0DBA359C
	v_mfma_f32_16x16x32_bf16 v[114:117], a[160:163], v[26:29], v[114:117]// 00000000388C: D3B50072 0DCA35A0
	s_waitcnt vmcnt(10)                                        // 000000003894: BF8C0F7A
	s_barrier                                                  // 000000003898: BF8A0000
	ds_read_b128 a[72:75], v16                                 // 00000000389C: DBFE0000 48000010
	v_mfma_f32_16x16x32_bf16 v[118:121], a[164:167], v[26:29], v[118:121]// 0000000038A4: D3B50076 0DDA35A4
	ds_read_b128 a[76:79], v16 offset:1024                     // 0000000038AC: DBFE0400 4C000010
	v_mfma_f32_16x16x32_bf16 v[122:125], a[168:171], v[26:29], v[122:125]// 0000000038B4: D3B5007A 0DEA35A8
	ds_read_b128 a[80:83], v16 offset:2048                     // 0000000038BC: DBFE0800 50000010
	v_mfma_f32_16x16x32_bf16 v[126:129], a[172:175], v[26:29], v[126:129]// 0000000038C4: D3B5007E 0DFA35AC
	ds_read_b128 a[84:87], v16 offset:3072                     // 0000000038CC: DBFE0C00 54000010
	v_mfma_f32_16x16x32_bf16 v[130:133], a[176:179], v[26:29], v[130:133]// 0000000038D4: D3B50082 0E0A35B0
	ds_read_b128 a[88:91], v16 offset:4096                     // 0000000038DC: DBFE1000 58000010
	v_mfma_f32_16x16x32_bf16 v[134:137], a[180:183], v[26:29], v[134:137]// 0000000038E4: D3B50086 0E1A35B4
	ds_read_b128 a[92:95], v16 offset:5120                     // 0000000038EC: DBFE1400 5C000010
	v_mfma_f32_16x16x32_bf16 v[138:141], a[184:187], v[26:29], v[138:141]// 0000000038F4: D3B5008A 0E2A35B8
	ds_read_b128 a[96:99], v16 offset:6144                     // 0000000038FC: DBFE1800 60000010
	v_mfma_f32_16x16x32_bf16 v[142:145], a[188:191], v[26:29], v[142:145]// 000000003904: D3B5008E 0E3A35BC
	ds_read_b128 a[100:103], v16 offset:7168                   // 00000000390C: DBFE1C00 64000010
	v_mfma_f32_16x16x32_bf16 v[146:149], a[192:195], v[26:29], v[146:149]// 000000003914: D3B50092 0E4A35C0
	ds_read_b128 a[104:107], v16 offset:8192                   // 00000000391C: DBFE2000 68000010
	v_mfma_f32_16x16x32_bf16 v[150:153], a[196:199], v[26:29], v[150:153]// 000000003924: D3B50096 0E5A35C4
	ds_read_b128 a[108:111], v16 offset:9216                   // 00000000392C: DBFE2400 6C000010
	v_mfma_f32_16x16x32_bf16 v[154:157], a[200:203], v[26:29], v[154:157]// 000000003934: D3B5009A 0E6A35C8
	ds_read_b128 a[112:115], v16 offset:10240                  // 00000000393C: DBFE2800 70000010
	v_mfma_f32_16x16x32_bf16 v[158:161], a[204:207], v[26:29], v[158:161]// 000000003944: D3B5009E 0E7A35CC
	ds_read_b128 a[116:119], v16 offset:11264                  // 00000000394C: DBFE2C00 74000010
	ds_read_b128 a[120:123], v16 offset:12288                  // 000000003954: DBFE3000 78000010
	ds_read_b128 a[124:127], v16 offset:13312                  // 00000000395C: DBFE3400 7C000010
	ds_read_b128 a[128:131], v16 offset:14336                  // 000000003964: DBFE3800 80000010
	ds_read_b128 a[132:135], v16 offset:15360                  // 00000000396C: DBFE3C00 84000010
	ds_read_b128 a[136:139], v16 offset:16384                  // 000000003974: DBFE4000 88000010
	ds_read_b128 a[140:143], v16 offset:17408                  // 00000000397C: DBFE4400 8C000010
	s_addk_i32 s70, 0x1                                        // 000000003984: B7460001
	s_cmp_lt_i32 s70, s71                                      // 000000003988: BF044746
	s_cbranch_scc0 label_2B6C                                  // 00000000398C: BF840537
	s_waitcnt lgkmcnt(4)                                       // 000000003990: BF8CC47F
	v_mfma_f32_16x16x32_bf16 v[26:29], a[72:75], a[0:3], 0     // 000000003994: D3B5001A 1A020148
	v_mul_u32_u24_e64 v25, v17, s68                            // 00000000399C: D1080019 00008911
	v_add_u32_e32 v25, v25, v1                                 // 0000000039A4: 68320319
	buffer_load_dword v19, v21, s[24:27], 0 offen              // 0000000039A8: E0501000 80061315
	ds_read_b128 a[72:75], v16 offset:18432                    // 0000000039B0: DBFE4800 48000010
	v_mfma_f32_16x16x32_bf16 v[26:29], a[76:79], a[4:7], v[26:29]// 0000000039B8: D3B5001A 1C6A094C
	s_mov_b32 s56, 0x14000                                     // 0000000039C0: BEB800FF 00014000
	s_mul_i32 s57, s7, 0x2400                                  // 0000000039C8: 9239FF07 00002400
	s_add_u32 m0, s56, s57                                     // 0000000039D0: 807C3938
	buffer_load_dwordx4 v25, s[20:23], 0 offen lds             // 0000000039D4: E05D1000 80050019
	s_add_i32 m0, m0, 0x3c0                                    // 0000000039DC: 817CFF7C 000003C0
	v_mfma_f32_16x16x32_bf16 v[26:29], a[80:83], a[8:11], v[26:29]// 0000000039E4: D3B5001A 1C6A1150
	ds_read_b128 a[76:79], v16 offset:19456                    // 0000000039EC: DBFE4C00 4C000010
	v_mfma_f32_16x16x32_bf16 v[26:29], a[84:87], a[12:15], v[26:29]// 0000000039F4: D3B5001A 1C6A1954
	buffer_load_dwordx4 v25, s[20:23], 0 offen offset:64 lds   // 0000000039FC: E05D1040 80050019
	s_add_i32 m0, m0, 0x3c0                                    // 000000003A04: 817CFF7C 000003C0
	v_mfma_f32_16x16x32_bf16 v[26:29], a[88:91], a[16:19], v[26:29]// 000000003A0C: D3B5001A 1C6A2158
	ds_read_b128 a[80:83], v16 offset:20480                    // 000000003A14: DBFE5000 50000010
	v_mfma_f32_16x16x32_bf16 v[26:29], a[92:95], a[20:23], v[26:29]// 000000003A1C: D3B5001A 1C6A295C
	buffer_load_dwordx4 v25, s[20:23], 0 offen offset:128 lds  // 000000003A24: E05D1080 80050019
	s_add_i32 m0, m0, 0x3c0                                    // 000000003A2C: 817CFF7C 000003C0
	v_mfma_f32_16x16x32_bf16 v[26:29], a[96:99], a[24:27], v[26:29]// 000000003A34: D3B5001A 1C6A3160
	ds_read_b128 a[84:87], v16 offset:21504                    // 000000003A3C: DBFE5400 54000010
	v_mfma_f32_16x16x32_bf16 v[26:29], a[100:103], a[28:31], v[26:29]// 000000003A44: D3B5001A 1C6A3964
	buffer_load_dwordx4 v25, s[20:23], 0 offen offset:192 lds  // 000000003A4C: E05D10C0 80050019
	s_add_i32 m0, m0, 0x3c0                                    // 000000003A54: 817CFF7C 000003C0
	v_mfma_f32_16x16x32_bf16 v[26:29], a[104:107], a[32:35], v[26:29]// 000000003A5C: D3B5001A 1C6A4168
	ds_read_b128 a[88:91], v16 offset:22528                    // 000000003A64: DBFE5800 58000010
	v_mfma_f32_16x16x32_bf16 v[26:29], a[108:111], a[36:39], v[26:29]// 000000003A6C: D3B5001A 1C6A496C
	buffer_load_dwordx4 v25, s[20:23], 0 offen offset:256 lds  // 000000003A74: E05D1100 80050019
	s_add_i32 m0, m0, 0x3c0                                    // 000000003A7C: 817CFF7C 000003C0
	v_mfma_f32_16x16x32_bf16 v[26:29], a[112:115], a[40:43], v[26:29]// 000000003A84: D3B5001A 1C6A5170
	ds_read_b128 a[92:95], v16 offset:23552                    // 000000003A8C: DBFE5C00 5C000010
	v_mfma_f32_16x16x32_bf16 v[26:29], a[116:119], a[44:47], v[26:29]// 000000003A94: D3B5001A 1C6A5974
	buffer_load_dwordx4 v25, s[20:23], 0 offen offset:320 lds  // 000000003A9C: E05D1140 80050019
	s_add_i32 m0, m0, 0x3c0                                    // 000000003AA4: 817CFF7C 000003C0
	v_mfma_f32_16x16x32_bf16 v[26:29], a[120:123], a[48:51], v[26:29]// 000000003AAC: D3B5001A 1C6A6178
	ds_read_b128 a[96:99], v16 offset:24576                    // 000000003AB4: DBFE6000 60000010
	v_mfma_f32_16x16x32_bf16 v[26:29], a[124:127], a[52:55], v[26:29]// 000000003ABC: D3B5001A 1C6A697C
	buffer_load_dwordx4 v25, s[20:23], 0 offen offset:384 lds  // 000000003AC4: E05D1180 80050019
	s_add_i32 m0, m0, 0x3c0                                    // 000000003ACC: 817CFF7C 000003C0
	v_mfma_f32_16x16x32_bf16 v[26:29], a[128:131], a[56:59], v[26:29]// 000000003AD4: D3B5001A 1C6A7180
	ds_read_b128 a[100:103], v16 offset:25600                  // 000000003ADC: DBFE6400 64000010
	v_mfma_f32_16x16x32_bf16 v[26:29], a[132:135], a[60:63], v[26:29]// 000000003AE4: D3B5001A 1C6A7984
	buffer_load_dwordx4 v25, s[20:23], 0 offen offset:448 lds  // 000000003AEC: E05D11C0 80050019
	s_add_i32 m0, m0, 0x3c0                                    // 000000003AF4: 817CFF7C 000003C0
	v_mfma_f32_16x16x32_bf16 v[26:29], a[136:139], a[64:67], v[26:29]// 000000003AFC: D3B5001A 1C6A8188
	ds_read_b128 a[104:107], v16 offset:26624                  // 000000003B04: DBFE6800 68000010
	v_mfma_f32_16x16x32_bf16 v[26:29], a[140:143], a[68:71], v[26:29]// 000000003B0C: D3B5001A 1C6A898C
	buffer_load_dwordx4 v25, s[20:23], 0 offen offset:512 lds  // 000000003B14: E05D1200 80050019
	s_add_i32 m0, m0, 0x3c0                                    // 000000003B1C: 817CFF7C 000003C0
	ds_read_b128 a[108:111], v16 offset:27648                  // 000000003B24: DBFE6C00 6C000010
	ds_read_b128 a[112:115], v16 offset:28672                  // 000000003B2C: DBFE7000 70000010
	ds_read_b128 a[116:119], v16 offset:29696                  // 000000003B34: DBFE7400 74000010
	ds_read_b128 a[120:123], v16 offset:30720                  // 000000003B3C: DBFE7800 78000010
	ds_read_b128 a[124:127], v16 offset:31744                  // 000000003B44: DBFE7C00 7C000010
	ds_read_b128 a[128:131], v16 offset:32768                  // 000000003B4C: DBFE8000 80000010
	ds_read_b128 a[132:135], v16 offset:33792                  // 000000003B54: DBFE8400 84000010
	ds_read_b128 a[136:139], v16 offset:34816                  // 000000003B5C: DBFE8800 88000010
	ds_read_b128 a[140:143], v16 offset:35840                  // 000000003B64: DBFE8C00 8C000010
	v_add_u32_e32 v21, s73, v21                                // 000000003B6C: 682A2A49
	s_waitcnt lgkmcnt(4)                                       // 000000003B70: BF8CC47F
	v_mfma_f32_16x16x32_bf16 v[30:33], a[72:75], a[0:3], 0     // 000000003B74: D3B5001E 1A020148
	ds_read_b64_tr_b16 a[144:145], v10                         // 000000003B7C: DBC60000 9000000A
	ds_read_b64_tr_b16 a[146:147], v10 offset:256              // 000000003B84: DBC60100 9200000A
	ds_read_b64_tr_b16 a[148:149], v11                         // 000000003B8C: DBC60000 9400000B
	ds_read_b64_tr_b16 a[150:151], v11 offset:256              // 000000003B94: DBC60100 9600000B
	v_mfma_f32_16x16x32_bf16 v[30:33], a[76:79], a[4:7], v[30:33]// 000000003B9C: D3B5001E 1C7A094C
	v_mfma_f32_16x16x32_bf16 v[30:33], a[80:83], a[8:11], v[30:33]// 000000003BA4: D3B5001E 1C7A1150
	ds_read_b64_tr_b16 a[152:153], v10 offset:1024             // 000000003BAC: DBC60400 9800000A
	ds_read_b64_tr_b16 a[154:155], v10 offset:1280             // 000000003BB4: DBC60500 9A00000A
	ds_read_b64_tr_b16 a[156:157], v11 offset:1024             // 000000003BBC: DBC60400 9C00000B
	ds_read_b64_tr_b16 a[158:159], v11 offset:1280             // 000000003BC4: DBC60500 9E00000B
	v_mfma_f32_16x16x32_bf16 v[30:33], a[84:87], a[12:15], v[30:33]// 000000003BCC: D3B5001E 1C7A1954
	v_mfma_f32_16x16x32_bf16 v[30:33], a[88:91], a[16:19], v[30:33]// 000000003BD4: D3B5001E 1C7A2158
	ds_read_b64_tr_b16 a[160:161], v10 offset:2048             // 000000003BDC: DBC60800 A000000A
	ds_read_b64_tr_b16 a[162:163], v10 offset:2304             // 000000003BE4: DBC60900 A200000A
	ds_read_b64_tr_b16 a[164:165], v11 offset:2048             // 000000003BEC: DBC60800 A400000B
	ds_read_b64_tr_b16 a[166:167], v11 offset:2304             // 000000003BF4: DBC60900 A600000B
	v_mfma_f32_16x16x32_bf16 v[30:33], a[92:95], a[20:23], v[30:33]// 000000003BFC: D3B5001E 1C7A295C
	v_mfma_f32_16x16x32_bf16 v[30:33], a[96:99], a[24:27], v[30:33]// 000000003C04: D3B5001E 1C7A3160
	ds_read_b64_tr_b16 a[168:169], v10 offset:3072             // 000000003C0C: DBC60C00 A800000A
	ds_read_b64_tr_b16 a[170:171], v10 offset:3328             // 000000003C14: DBC60D00 AA00000A
	ds_read_b64_tr_b16 a[172:173], v11 offset:3072             // 000000003C1C: DBC60C00 AC00000B
	ds_read_b64_tr_b16 a[174:175], v11 offset:3328             // 000000003C24: DBC60D00 AE00000B
	v_mfma_f32_16x16x32_bf16 v[30:33], a[100:103], a[28:31], v[30:33]// 000000003C2C: D3B5001E 1C7A3964
	v_mfma_f32_16x16x32_bf16 v[30:33], a[104:107], a[32:35], v[30:33]// 000000003C34: D3B5001E 1C7A4168
	ds_read_b64_tr_b16 a[176:177], v10 offset:4096             // 000000003C3C: DBC61000 B000000A
	ds_read_b64_tr_b16 a[178:179], v10 offset:4352             // 000000003C44: DBC61100 B200000A
	ds_read_b64_tr_b16 a[180:181], v11 offset:4096             // 000000003C4C: DBC61000 B400000B
	ds_read_b64_tr_b16 a[182:183], v11 offset:4352             // 000000003C54: DBC61100 B600000B
	v_mfma_f32_16x16x32_bf16 v[30:33], a[108:111], a[36:39], v[30:33]// 000000003C5C: D3B5001E 1C7A496C
	v_mfma_f32_16x16x32_bf16 v[30:33], a[112:115], a[40:43], v[30:33]// 000000003C64: D3B5001E 1C7A5170
	ds_read_b64_tr_b16 a[184:185], v10 offset:5120             // 000000003C6C: DBC61400 B800000A
	ds_read_b64_tr_b16 a[186:187], v10 offset:5376             // 000000003C74: DBC61500 BA00000A
	ds_read_b64_tr_b16 a[188:189], v11 offset:5120             // 000000003C7C: DBC61400 BC00000B
	ds_read_b64_tr_b16 a[190:191], v11 offset:5376             // 000000003C84: DBC61500 BE00000B
	v_mfma_f32_16x16x32_bf16 v[30:33], a[116:119], a[44:47], v[30:33]// 000000003C8C: D3B5001E 1C7A5974
	v_mfma_f32_16x16x32_bf16 v[30:33], a[120:123], a[48:51], v[30:33]// 000000003C94: D3B5001E 1C7A6178
	ds_read_b64_tr_b16 a[192:193], v10 offset:6144             // 000000003C9C: DBC61800 C000000A
	ds_read_b64_tr_b16 a[194:195], v10 offset:6400             // 000000003CA4: DBC61900 C200000A
	ds_read_b64_tr_b16 a[196:197], v11 offset:6144             // 000000003CAC: DBC61800 C400000B
	ds_read_b64_tr_b16 a[198:199], v11 offset:6400             // 000000003CB4: DBC61900 C600000B
	v_mfma_f32_16x16x32_bf16 v[30:33], a[124:127], a[52:55], v[30:33]// 000000003CBC: D3B5001E 1C7A697C
	v_mfma_f32_16x16x32_bf16 v[30:33], a[128:131], a[56:59], v[30:33]// 000000003CC4: D3B5001E 1C7A7180
	ds_read_b64_tr_b16 a[200:201], v10 offset:7168             // 000000003CCC: DBC61C00 C800000A
	ds_read_b64_tr_b16 a[202:203], v10 offset:7424             // 000000003CD4: DBC61D00 CA00000A
	ds_read_b64_tr_b16 a[204:205], v11 offset:7168             // 000000003CDC: DBC61C00 CC00000B
	ds_read_b64_tr_b16 a[206:207], v11 offset:7424             // 000000003CE4: DBC61D00 CE00000B
	v_mfma_f32_16x16x32_bf16 v[30:33], a[132:135], a[60:63], v[30:33]// 000000003CEC: D3B5001E 1C7A7984
	v_mfma_f32_16x16x32_bf16 v[30:33], a[136:139], a[64:67], v[30:33]// 000000003CF4: D3B5001E 1C7A8188
	v_mfma_f32_16x16x32_bf16 v[30:33], a[140:143], a[68:71], v[30:33]// 000000003CFC: D3B5001E 1C7A898C
	s_cmp_le_i32 s83, s82                                      // 000000003D04: BF055253
	s_cbranch_scc1 label_1B00                                  // 000000003D08: BF85003D
	v_mov_b32_e32 v22, s82                                     // 000000003D0C: 7E2C0252
	s_sub_u32 s58, s81, s80                                    // 000000003D10: 80BA5051
	s_add_u32 s58, s58, s7                                     // 000000003D14: 803A073A
	v_add_u32_e32 v22, s58, v22                                // 000000003D18: 682C2C3A
	s_sub_u32 s56, s83, 31                                     // 000000003D1C: 80B89F53
	v_lshrrev_b32_e32 v162, 4, v0                              // 000000003D20: 21440084
	v_mul_i32_i24_e32 v162, 4, v162                            // 000000003D24: 0D454484
	v_add_u32_e32 v162, s56, v162                              // 000000003D28: 69454438
	v_add_u32_e32 v163, 1, v162                                // 000000003D2C: 69474481
	v_add_u32_e32 v164, 2, v162                                // 000000003D30: 69494482
	v_add_u32_e32 v165, 3, v162                                // 000000003D34: 694B4483
	v_mov_b32_e32 v23, 0xff800000                              // 000000003D38: 7E2E02FF FF800000
	v_cmp_le_u32_e64 s[36:37], v162, v22                       // 000000003D40: D0CB0024 00022DA2
	v_add_u32_e32 v162, 16, v162                               // 000000003D48: 69454490
	s_nop 0                                                    // 000000003D4C: BF800000
	v_cndmask_b32_e64 v26, v23, v26, s[36:37]                  // 000000003D50: D100001A 00923517
	v_cmp_le_u32_e64 s[36:37], v163, v22                       // 000000003D58: D0CB0024 00022DA3
	v_add_u32_e32 v163, 16, v163                               // 000000003D60: 69474690
	s_nop 0                                                    // 000000003D64: BF800000
	v_cndmask_b32_e64 v27, v23, v27, s[36:37]                  // 000000003D68: D100001B 00923717
	v_cmp_le_u32_e64 s[36:37], v164, v22                       // 000000003D70: D0CB0024 00022DA4
	v_add_u32_e32 v164, 16, v164                               // 000000003D78: 69494890
	s_nop 0                                                    // 000000003D7C: BF800000
	v_cndmask_b32_e64 v28, v23, v28, s[36:37]                  // 000000003D80: D100001C 00923917
	v_cmp_le_u32_e64 s[36:37], v165, v22                       // 000000003D88: D0CB0024 00022DA5
	v_add_u32_e32 v165, 16, v165                               // 000000003D90: 694B4A90
	s_nop 0                                                    // 000000003D94: BF800000
	v_cndmask_b32_e64 v29, v23, v29, s[36:37]                  // 000000003D98: D100001D 00923B17
	v_cmp_le_u32_e64 s[36:37], v162, v22                       // 000000003DA0: D0CB0024 00022DA2
	v_add_u32_e32 v162, 16, v162                               // 000000003DA8: 69454490
	s_nop 0                                                    // 000000003DAC: BF800000
	v_cndmask_b32_e64 v30, v23, v30, s[36:37]                  // 000000003DB0: D100001E 00923D17
	v_cmp_le_u32_e64 s[36:37], v163, v22                       // 000000003DB8: D0CB0024 00022DA3
	v_add_u32_e32 v163, 16, v163                               // 000000003DC0: 69474690
	s_nop 0                                                    // 000000003DC4: BF800000
	v_cndmask_b32_e64 v31, v23, v31, s[36:37]                  // 000000003DC8: D100001F 00923F17
	v_cmp_le_u32_e64 s[36:37], v164, v22                       // 000000003DD0: D0CB0024 00022DA4
	v_add_u32_e32 v164, 16, v164                               // 000000003DD8: 69494890
	s_nop 0                                                    // 000000003DDC: BF800000
	v_cndmask_b32_e64 v32, v23, v32, s[36:37]                  // 000000003DE0: D1000020 00924117
	v_cmp_le_u32_e64 s[36:37], v165, v22                       // 000000003DE8: D0CB0024 00022DA5
	v_add_u32_e32 v165, 16, v165                               // 000000003DF0: 694B4A90
	s_nop 0                                                    // 000000003DF4: BF800000
	v_cndmask_b32_e64 v33, v23, v33, s[36:37]                  // 000000003DF8: D1000021 00924317

0000000000003e00 <label_1B00>:
	s_add_u32 s83, s84, s83                                    // 000000003E00: 80535354
	s_nop 2                                                    // 000000003E04: BF800002
	v_mov_b32_e32 v23, v26                                     // 000000003E08: 7E2E031A
	v_max3_f32 v23, v26, v27, v23                              // 000000003E0C: D1D30017 045E371A
	v_max3_f32 v23, v28, v29, v23                              // 000000003E14: D1D30017 045E3B1C
	v_max3_f32 v23, v30, v31, v23                              // 000000003E1C: D1D30017 045E3F1E
	v_max3_f32 v23, v32, v33, v23                              // 000000003E24: D1D30017 045E4320
	v_mov_b32_e32 v22, v23                                     // 000000003E2C: 7E2C0317
	v_mov_b32_e32 v23, v23                                     // 000000003E30: 7E2E0317
	s_nop 1                                                    // 000000003E34: BF800001
	v_permlane16_swap_b32_e32 v22, v23                         // 000000003E38: 7E2CB317
	v_mov_b32_e32 v25, v22                                     // 000000003E3C: 7E320316
	v_mov_b32_e32 v24, v23                                     // 000000003E40: 7E300317
	s_nop 1                                                    // 000000003E44: BF800001
	v_permlane32_swap_b32_e32 v22, v23                         // 000000003E48: 7E2CB517
	v_permlane32_swap_b32_e32 v24, v25                         // 000000003E4C: 7E30B519
	v_max3_f32 v23, v22, v23, v23                              // 000000003E50: D1D30017 045E2F16
	v_max3_f32 v23, v24, v25, v23                              // 000000003E58: D1D30017 045E3318
	v_mov_b32_e32 v22, 0xff800000                              // 000000003E60: 7E2C02FF FF800000
	v_cmp_eq_u32_e64 s[36:37], v22, v2                         // 000000003E68: D0CA0024 00020516
	v_max_f32_e32 v23, v23, v2                                 // 000000003E70: 162E0517
	v_sub_f32_e32 v12, v2, v23                                 // 000000003E74: 04182F02
	v_cndmask_b32_e64 v12, v12, 0, s[36:37]                    // 000000003E78: D100000C 0091010C
	v_mov_b32_e32 v2, v23                                      // 000000003E80: 7E040317
	v_mul_f32_e32 v23, s5, v23                                 // 000000003E84: 0A2E2E05
	v_mul_f32_e32 v12, s5, v12                                 // 000000003E88: 0A181805
	v_exp_f32_e32 v12, v12                                     // 000000003E8C: 7E18410C
	v_fma_f32 v26, v26, s5, -v23                               // 000000003E90: D1CB001A 845C0B1A
	v_fma_f32 v27, v27, s5, -v23                               // 000000003E98: D1CB001B 845C0B1B
	v_fma_f32 v28, v28, s5, -v23                               // 000000003EA0: D1CB001C 845C0B1C
	v_fma_f32 v29, v29, s5, -v23                               // 000000003EA8: D1CB001D 845C0B1D
	v_fma_f32 v30, v30, s5, -v23                               // 000000003EB0: D1CB001E 845C0B1E
	v_fma_f32 v31, v31, s5, -v23                               // 000000003EB8: D1CB001F 845C0B1F
	v_fma_f32 v32, v32, s5, -v23                               // 000000003EC0: D1CB0020 845C0B20
	v_fma_f32 v33, v33, s5, -v23                               // 000000003EC8: D1CB0021 845C0B21
	v_exp_f32_e32 v26, v26                                     // 000000003ED0: 7E34411A
	v_exp_f32_e32 v27, v27                                     // 000000003ED4: 7E36411B
	v_exp_f32_e32 v28, v28                                     // 000000003ED8: 7E38411C
	v_exp_f32_e32 v29, v29                                     // 000000003EDC: 7E3A411D
	v_exp_f32_e32 v30, v30                                     // 000000003EE0: 7E3C411E
	v_exp_f32_e32 v31, v31                                     // 000000003EE4: 7E3E411F
	v_exp_f32_e32 v32, v32                                     // 000000003EE8: 7E404120
	v_exp_f32_e32 v33, v33                                     // 000000003EEC: 7E424121
	v_mul_f32_e32 v4, v12, v4                                  // 000000003EF0: 0A08090C
	v_mov_b32_e32 v22, v26                                     // 000000003EF4: 7E2C031A
	v_add_f32_e32 v22, v27, v22                                // 000000003EF8: 022C2D1B
	v_add_f32_e32 v22, v28, v22                                // 000000003EFC: 022C2D1C
	v_add_f32_e32 v22, v29, v22                                // 000000003F00: 022C2D1D
	v_add_f32_e32 v22, v30, v22                                // 000000003F04: 022C2D1E
	v_add_f32_e32 v22, v31, v22                                // 000000003F08: 022C2D1F
	v_add_f32_e32 v22, v32, v22                                // 000000003F0C: 022C2D20
	v_add_f32_e32 v22, v33, v22                                // 000000003F10: 022C2D21
	v_add_f32_e32 v4, v22, v4                                  // 000000003F14: 02080916
	v_cvt_pk_bf16_f32 v26, v26, v27                            // 000000003F18: D268001A 0002371A
	v_cvt_pk_bf16_f32 v27, v28, v29                            // 000000003F20: D268001B 00023B1C
	v_cvt_pk_bf16_f32 v28, v30, v31                            // 000000003F28: D268001C 00023F1E
	v_cvt_pk_bf16_f32 v29, v32, v33                            // 000000003F30: D268001D 00024320
	s_nop 0                                                    // 000000003F38: BF800000
	v_permlane32_swap_b32_e32 v26, v28                         // 000000003F3C: 7E34B51C
	v_permlane32_swap_b32_e32 v27, v29                         // 000000003F40: 7E36B51D
	s_nop 0                                                    // 000000003F44: BF800000
	v_permlane16_swap_b32_e32 v26, v28                         // 000000003F48: 7E34B31C
	v_permlane16_swap_b32_e32 v27, v29                         // 000000003F4C: 7E36B31D
	v_mul_f32_e32 v34, v12, v34                                // 000000003F50: 0A44450C
	v_mul_f32_e32 v35, v12, v35                                // 000000003F54: 0A46470C
	v_mul_f32_e32 v36, v12, v36                                // 000000003F58: 0A48490C
	v_mul_f32_e32 v37, v12, v37                                // 000000003F5C: 0A4A4B0C
	v_mul_f32_e32 v38, v12, v38                                // 000000003F60: 0A4C4D0C
	v_mul_f32_e32 v39, v12, v39                                // 000000003F64: 0A4E4F0C
	v_mul_f32_e32 v40, v12, v40                                // 000000003F68: 0A50510C
	v_mul_f32_e32 v41, v12, v41                                // 000000003F6C: 0A52530C
	v_mul_f32_e32 v42, v12, v42                                // 000000003F70: 0A54550C
	v_mul_f32_e32 v43, v12, v43                                // 000000003F74: 0A56570C
	v_mul_f32_e32 v44, v12, v44                                // 000000003F78: 0A58590C
	v_mul_f32_e32 v45, v12, v45                                // 000000003F7C: 0A5A5B0C
	v_mul_f32_e32 v46, v12, v46                                // 000000003F80: 0A5C5D0C
	v_mul_f32_e32 v47, v12, v47                                // 000000003F84: 0A5E5F0C
	v_mul_f32_e32 v48, v12, v48                                // 000000003F88: 0A60610C
	v_mul_f32_e32 v49, v12, v49                                // 000000003F8C: 0A62630C
	v_mul_f32_e32 v50, v12, v50                                // 000000003F90: 0A64650C
	v_mul_f32_e32 v51, v12, v51                                // 000000003F94: 0A66670C
	v_mul_f32_e32 v52, v12, v52                                // 000000003F98: 0A68690C
	v_mul_f32_e32 v53, v12, v53                                // 000000003F9C: 0A6A6B0C
	v_mul_f32_e32 v54, v12, v54                                // 000000003FA0: 0A6C6D0C
	v_mul_f32_e32 v55, v12, v55                                // 000000003FA4: 0A6E6F0C
	v_mul_f32_e32 v56, v12, v56                                // 000000003FA8: 0A70710C
	v_mul_f32_e32 v57, v12, v57                                // 000000003FAC: 0A72730C
	v_mul_f32_e32 v58, v12, v58                                // 000000003FB0: 0A74750C
	v_mul_f32_e32 v59, v12, v59                                // 000000003FB4: 0A76770C
	v_mul_f32_e32 v60, v12, v60                                // 000000003FB8: 0A78790C
	v_mul_f32_e32 v61, v12, v61                                // 000000003FBC: 0A7A7B0C
	v_mul_f32_e32 v62, v12, v62                                // 000000003FC0: 0A7C7D0C
	v_mul_f32_e32 v63, v12, v63                                // 000000003FC4: 0A7E7F0C
	v_mul_f32_e32 v64, v12, v64                                // 000000003FC8: 0A80810C
	v_mul_f32_e32 v65, v12, v65                                // 000000003FCC: 0A82830C
	v_mul_f32_e32 v66, v12, v66                                // 000000003FD0: 0A84850C
	v_mul_f32_e32 v67, v12, v67                                // 000000003FD4: 0A86870C
	v_mul_f32_e32 v68, v12, v68                                // 000000003FD8: 0A88890C
	v_mul_f32_e32 v69, v12, v69                                // 000000003FDC: 0A8A8B0C
	v_mul_f32_e32 v70, v12, v70                                // 000000003FE0: 0A8C8D0C
	v_mul_f32_e32 v71, v12, v71                                // 000000003FE4: 0A8E8F0C
	v_mul_f32_e32 v72, v12, v72                                // 000000003FE8: 0A90910C
	v_mul_f32_e32 v73, v12, v73                                // 000000003FEC: 0A92930C
	v_mul_f32_e32 v74, v12, v74                                // 000000003FF0: 0A94950C
	v_mul_f32_e32 v75, v12, v75                                // 000000003FF4: 0A96970C
	v_mul_f32_e32 v76, v12, v76                                // 000000003FF8: 0A98990C
	v_mul_f32_e32 v77, v12, v77                                // 000000003FFC: 0A9A9B0C
	v_mul_f32_e32 v78, v12, v78                                // 000000004000: 0A9C9D0C
	v_mul_f32_e32 v79, v12, v79                                // 000000004004: 0A9E9F0C
	v_mul_f32_e32 v80, v12, v80                                // 000000004008: 0AA0A10C
	v_mul_f32_e32 v81, v12, v81                                // 00000000400C: 0AA2A30C
	v_mul_f32_e32 v82, v12, v82                                // 000000004010: 0AA4A50C
	v_mul_f32_e32 v83, v12, v83                                // 000000004014: 0AA6A70C
	v_mul_f32_e32 v84, v12, v84                                // 000000004018: 0AA8A90C
	v_mul_f32_e32 v85, v12, v85                                // 00000000401C: 0AAAAB0C
	v_mul_f32_e32 v86, v12, v86                                // 000000004020: 0AACAD0C
	v_mul_f32_e32 v87, v12, v87                                // 000000004024: 0AAEAF0C
	v_mul_f32_e32 v88, v12, v88                                // 000000004028: 0AB0B10C
	v_mul_f32_e32 v89, v12, v89                                // 00000000402C: 0AB2B30C
	v_mul_f32_e32 v90, v12, v90                                // 000000004030: 0AB4B50C
	v_mul_f32_e32 v91, v12, v91                                // 000000004034: 0AB6B70C
	v_mul_f32_e32 v92, v12, v92                                // 000000004038: 0AB8B90C
	v_mul_f32_e32 v93, v12, v93                                // 00000000403C: 0ABABB0C
	v_mul_f32_e32 v94, v12, v94                                // 000000004040: 0ABCBD0C
	v_mul_f32_e32 v95, v12, v95                                // 000000004044: 0ABEBF0C
	v_mul_f32_e32 v96, v12, v96                                // 000000004048: 0AC0C10C
	v_mul_f32_e32 v97, v12, v97                                // 00000000404C: 0AC2C30C
	v_mul_f32_e32 v98, v12, v98                                // 000000004050: 0AC4C50C
	v_mul_f32_e32 v99, v12, v99                                // 000000004054: 0AC6C70C
	v_mul_f32_e32 v100, v12, v100                              // 000000004058: 0AC8C90C
	v_mul_f32_e32 v101, v12, v101                              // 00000000405C: 0ACACB0C
	v_mul_f32_e32 v102, v12, v102                              // 000000004060: 0ACCCD0C
	v_mul_f32_e32 v103, v12, v103                              // 000000004064: 0ACECF0C
	v_mul_f32_e32 v104, v12, v104                              // 000000004068: 0AD0D10C
	v_mul_f32_e32 v105, v12, v105                              // 00000000406C: 0AD2D30C
	v_mul_f32_e32 v106, v12, v106                              // 000000004070: 0AD4D50C
	v_mul_f32_e32 v107, v12, v107                              // 000000004074: 0AD6D70C
	v_mul_f32_e32 v108, v12, v108                              // 000000004078: 0AD8D90C
	v_mul_f32_e32 v109, v12, v109                              // 00000000407C: 0ADADB0C
	v_mul_f32_e32 v110, v12, v110                              // 000000004080: 0ADCDD0C
	v_mul_f32_e32 v111, v12, v111                              // 000000004084: 0ADEDF0C
	v_mul_f32_e32 v112, v12, v112                              // 000000004088: 0AE0E10C
	v_mul_f32_e32 v113, v12, v113                              // 00000000408C: 0AE2E30C
	v_mul_f32_e32 v114, v12, v114                              // 000000004090: 0AE4E50C
	v_mul_f32_e32 v115, v12, v115                              // 000000004094: 0AE6E70C
	v_mul_f32_e32 v116, v12, v116                              // 000000004098: 0AE8E90C
	v_mul_f32_e32 v117, v12, v117                              // 00000000409C: 0AEAEB0C
	v_mul_f32_e32 v118, v12, v118                              // 0000000040A0: 0AECED0C
	v_mul_f32_e32 v119, v12, v119                              // 0000000040A4: 0AEEEF0C
	v_mul_f32_e32 v120, v12, v120                              // 0000000040A8: 0AF0F10C
	v_mul_f32_e32 v121, v12, v121                              // 0000000040AC: 0AF2F30C
	v_mul_f32_e32 v122, v12, v122                              // 0000000040B0: 0AF4F50C
	v_mul_f32_e32 v123, v12, v123                              // 0000000040B4: 0AF6F70C
	v_mul_f32_e32 v124, v12, v124                              // 0000000040B8: 0AF8F90C
	v_mul_f32_e32 v125, v12, v125                              // 0000000040BC: 0AFAFB0C
	v_mul_f32_e32 v126, v12, v126                              // 0000000040C0: 0AFCFD0C
	v_mul_f32_e32 v127, v12, v127                              // 0000000040C4: 0AFEFF0C
	v_mul_f32_e32 v128, v12, v128                              // 0000000040C8: 0B01010C
	v_mul_f32_e32 v129, v12, v129                              // 0000000040CC: 0B03030C
	v_mul_f32_e32 v130, v12, v130                              // 0000000040D0: 0B05050C
	v_mul_f32_e32 v131, v12, v131                              // 0000000040D4: 0B07070C
	v_mul_f32_e32 v132, v12, v132                              // 0000000040D8: 0B09090C
	v_mul_f32_e32 v133, v12, v133                              // 0000000040DC: 0B0B0B0C
	v_mul_f32_e32 v134, v12, v134                              // 0000000040E0: 0B0D0D0C
	v_mul_f32_e32 v135, v12, v135                              // 0000000040E4: 0B0F0F0C
	v_mul_f32_e32 v136, v12, v136                              // 0000000040E8: 0B11110C
	v_mul_f32_e32 v137, v12, v137                              // 0000000040EC: 0B13130C
	v_mul_f32_e32 v138, v12, v138                              // 0000000040F0: 0B15150C
	v_mul_f32_e32 v139, v12, v139                              // 0000000040F4: 0B17170C
	v_mul_f32_e32 v140, v12, v140                              // 0000000040F8: 0B19190C
	v_mul_f32_e32 v141, v12, v141                              // 0000000040FC: 0B1B1B0C
	v_mul_f32_e32 v142, v12, v142                              // 000000004100: 0B1D1D0C
	v_mul_f32_e32 v143, v12, v143                              // 000000004104: 0B1F1F0C
	v_mul_f32_e32 v144, v12, v144                              // 000000004108: 0B21210C
	v_mul_f32_e32 v145, v12, v145                              // 00000000410C: 0B23230C
	v_mul_f32_e32 v146, v12, v146                              // 000000004110: 0B25250C
	v_mul_f32_e32 v147, v12, v147                              // 000000004114: 0B27270C
	v_mul_f32_e32 v148, v12, v148                              // 000000004118: 0B29290C
	v_mul_f32_e32 v149, v12, v149                              // 00000000411C: 0B2B2B0C
	v_mul_f32_e32 v150, v12, v150                              // 000000004120: 0B2D2D0C
	v_mul_f32_e32 v151, v12, v151                              // 000000004124: 0B2F2F0C
	v_mul_f32_e32 v152, v12, v152                              // 000000004128: 0B31310C
	v_mul_f32_e32 v153, v12, v153                              // 00000000412C: 0B33330C
	v_mul_f32_e32 v154, v12, v154                              // 000000004130: 0B35350C
	v_mul_f32_e32 v155, v12, v155                              // 000000004134: 0B37370C
	v_mul_f32_e32 v156, v12, v156                              // 000000004138: 0B39390C
	v_mul_f32_e32 v157, v12, v157                              // 00000000413C: 0B3B3B0C
	v_mul_f32_e32 v158, v12, v158                              // 000000004140: 0B3D3D0C
	v_mul_f32_e32 v159, v12, v159                              // 000000004144: 0B3F3F0C
	v_mul_f32_e32 v160, v12, v160                              // 000000004148: 0B41410C
	v_mul_f32_e32 v161, v12, v161                              // 00000000414C: 0B43430C
	s_waitcnt lgkmcnt(0)                                       // 000000004150: BF8CC07F
	v_mfma_f32_16x16x32_bf16 v[34:37], a[144:147], v[26:29], v[34:37]// 000000004154: D3B50022 0C8A3590
	v_mfma_f32_16x16x32_bf16 v[38:41], a[148:151], v[26:29], v[38:41]// 00000000415C: D3B50026 0C9A3594
	v_mfma_f32_16x16x32_bf16 v[42:45], a[152:155], v[26:29], v[42:45]// 000000004164: D3B5002A 0CAA3598
	v_mfma_f32_16x16x32_bf16 v[46:49], a[156:159], v[26:29], v[46:49]// 00000000416C: D3B5002E 0CBA359C
	v_mfma_f32_16x16x32_bf16 v[50:53], a[160:163], v[26:29], v[50:53]// 000000004174: D3B50032 0CCA35A0
	v_mfma_f32_16x16x32_bf16 v[54:57], a[164:167], v[26:29], v[54:57]// 00000000417C: D3B50036 0CDA35A4
	v_mfma_f32_16x16x32_bf16 v[58:61], a[168:171], v[26:29], v[58:61]// 000000004184: D3B5003A 0CEA35A8
	v_mfma_f32_16x16x32_bf16 v[62:65], a[172:175], v[26:29], v[62:65]// 00000000418C: D3B5003E 0CFA35AC
	v_mfma_f32_16x16x32_bf16 v[66:69], a[176:179], v[26:29], v[66:69]// 000000004194: D3B50042 0D0A35B0
	v_mfma_f32_16x16x32_bf16 v[70:73], a[180:183], v[26:29], v[70:73]// 00000000419C: D3B50046 0D1A35B4
	v_mfma_f32_16x16x32_bf16 v[74:77], a[184:187], v[26:29], v[74:77]// 0000000041A4: D3B5004A 0D2A35B8
	ds_read_b64_tr_b16 a[144:145], v10 offset:8192             // 0000000041AC: DBC62000 9000000A
	ds_read_b64_tr_b16 a[146:147], v10 offset:8448             // 0000000041B4: DBC62100 9200000A
	ds_read_b64_tr_b16 a[148:149], v11 offset:8192             // 0000000041BC: DBC62000 9400000B
	ds_read_b64_tr_b16 a[150:151], v11 offset:8448             // 0000000041C4: DBC62100 9600000B
	v_mfma_f32_16x16x32_bf16 v[78:81], a[188:191], v[26:29], v[78:81]// 0000000041CC: D3B5004E 0D3A35BC
	ds_read_b64_tr_b16 a[152:153], v10 offset:9216             // 0000000041D4: DBC62400 9800000A
	ds_read_b64_tr_b16 a[154:155], v10 offset:9472             // 0000000041DC: DBC62500 9A00000A
	ds_read_b64_tr_b16 a[156:157], v11 offset:9216             // 0000000041E4: DBC62400 9C00000B
	ds_read_b64_tr_b16 a[158:159], v11 offset:9472             // 0000000041EC: DBC62500 9E00000B
	v_mfma_f32_16x16x32_bf16 v[82:85], a[192:195], v[26:29], v[82:85]// 0000000041F4: D3B50052 0D4A35C0
	ds_read_b64_tr_b16 a[160:161], v10 offset:10240            // 0000000041FC: DBC62800 A000000A
	ds_read_b64_tr_b16 a[162:163], v10 offset:10496            // 000000004204: DBC62900 A200000A
	ds_read_b64_tr_b16 a[164:165], v11 offset:10240            // 00000000420C: DBC62800 A400000B
	ds_read_b64_tr_b16 a[166:167], v11 offset:10496            // 000000004214: DBC62900 A600000B
	v_mfma_f32_16x16x32_bf16 v[86:89], a[196:199], v[26:29], v[86:89]// 00000000421C: D3B50056 0D5A35C4
	ds_read_b64_tr_b16 a[168:169], v10 offset:11264            // 000000004224: DBC62C00 A800000A
	ds_read_b64_tr_b16 a[170:171], v10 offset:11520            // 00000000422C: DBC62D00 AA00000A
	ds_read_b64_tr_b16 a[172:173], v11 offset:11264            // 000000004234: DBC62C00 AC00000B
	ds_read_b64_tr_b16 a[174:175], v11 offset:11520            // 00000000423C: DBC62D00 AE00000B
	v_mfma_f32_16x16x32_bf16 v[90:93], a[200:203], v[26:29], v[90:93]// 000000004244: D3B5005A 0D6A35C8
	ds_read_b64_tr_b16 a[176:177], v10 offset:12288            // 00000000424C: DBC63000 B000000A
	ds_read_b64_tr_b16 a[178:179], v10 offset:12544            // 000000004254: DBC63100 B200000A
	ds_read_b64_tr_b16 a[180:181], v11 offset:12288            // 00000000425C: DBC63000 B400000B
	ds_read_b64_tr_b16 a[182:183], v11 offset:12544            // 000000004264: DBC63100 B600000B
	v_mfma_f32_16x16x32_bf16 v[94:97], a[204:207], v[26:29], v[94:97]// 00000000426C: D3B5005E 0D7A35CC
	ds_read_b64_tr_b16 a[184:185], v10 offset:13312            // 000000004274: DBC63400 B800000A
	ds_read_b64_tr_b16 a[186:187], v10 offset:13568            // 00000000427C: DBC63500 BA00000A
	ds_read_b64_tr_b16 a[188:189], v11 offset:13312            // 000000004284: DBC63400 BC00000B
	ds_read_b64_tr_b16 a[190:191], v11 offset:13568            // 00000000428C: DBC63500 BE00000B
	ds_read_b64_tr_b16 a[192:193], v10 offset:14336            // 000000004294: DBC63800 C000000A
	ds_read_b64_tr_b16 a[194:195], v10 offset:14592            // 00000000429C: DBC63900 C200000A
	ds_read_b64_tr_b16 a[196:197], v11 offset:14336            // 0000000042A4: DBC63800 C400000B
	ds_read_b64_tr_b16 a[198:199], v11 offset:14592            // 0000000042AC: DBC63900 C600000B
	ds_read_b64_tr_b16 a[200:201], v10 offset:15360            // 0000000042B4: DBC63C00 C800000A
	ds_read_b64_tr_b16 a[202:203], v10 offset:15616            // 0000000042BC: DBC63D00 CA00000A
	ds_read_b64_tr_b16 a[204:205], v11 offset:15360            // 0000000042C4: DBC63C00 CC00000B
	ds_read_b64_tr_b16 a[206:207], v11 offset:15616            // 0000000042CC: DBC63D00 CE00000B
	s_waitcnt lgkmcnt(0)                                       // 0000000042D4: BF8CC07F
	v_mfma_f32_16x16x32_bf16 v[98:101], a[144:147], v[26:29], v[98:101]// 0000000042D8: D3B50062 0D8A3590
	v_mfma_f32_16x16x32_bf16 v[102:105], a[148:151], v[26:29], v[102:105]// 0000000042E0: D3B50066 0D9A3594
	v_mfma_f32_16x16x32_bf16 v[106:109], a[152:155], v[26:29], v[106:109]// 0000000042E8: D3B5006A 0DAA3598
	v_mfma_f32_16x16x32_bf16 v[110:113], a[156:159], v[26:29], v[110:113]// 0000000042F0: D3B5006E 0DBA359C
	v_mfma_f32_16x16x32_bf16 v[114:117], a[160:163], v[26:29], v[114:117]// 0000000042F8: D3B50072 0DCA35A0
	s_waitcnt vmcnt(10)                                        // 000000004300: BF8C0F7A
	s_barrier                                                  // 000000004304: BF8A0000
	ds_read_b128 a[72:75], v14                                 // 000000004308: DBFE0000 4800000E
	v_mfma_f32_16x16x32_bf16 v[118:121], a[164:167], v[26:29], v[118:121]// 000000004310: D3B50076 0DDA35A4
	ds_read_b128 a[76:79], v14 offset:1024                     // 000000004318: DBFE0400 4C00000E
	v_mfma_f32_16x16x32_bf16 v[122:125], a[168:171], v[26:29], v[122:125]// 000000004320: D3B5007A 0DEA35A8
	ds_read_b128 a[80:83], v14 offset:2048                     // 000000004328: DBFE0800 5000000E
	v_mfma_f32_16x16x32_bf16 v[126:129], a[172:175], v[26:29], v[126:129]// 000000004330: D3B5007E 0DFA35AC
	ds_read_b128 a[84:87], v14 offset:3072                     // 000000004338: DBFE0C00 5400000E
	v_mfma_f32_16x16x32_bf16 v[130:133], a[176:179], v[26:29], v[130:133]// 000000004340: D3B50082 0E0A35B0
	ds_read_b128 a[88:91], v14 offset:4096                     // 000000004348: DBFE1000 5800000E
	v_mfma_f32_16x16x32_bf16 v[134:137], a[180:183], v[26:29], v[134:137]// 000000004350: D3B50086 0E1A35B4
	ds_read_b128 a[92:95], v14 offset:5120                     // 000000004358: DBFE1400 5C00000E
	v_mfma_f32_16x16x32_bf16 v[138:141], a[184:187], v[26:29], v[138:141]// 000000004360: D3B5008A 0E2A35B8
	ds_read_b128 a[96:99], v14 offset:6144                     // 000000004368: DBFE1800 6000000E
	v_mfma_f32_16x16x32_bf16 v[142:145], a[188:191], v[26:29], v[142:145]// 000000004370: D3B5008E 0E3A35BC
	ds_read_b128 a[100:103], v14 offset:7168                   // 000000004378: DBFE1C00 6400000E
	v_mfma_f32_16x16x32_bf16 v[146:149], a[192:195], v[26:29], v[146:149]// 000000004380: D3B50092 0E4A35C0
	ds_read_b128 a[104:107], v14 offset:8192                   // 000000004388: DBFE2000 6800000E
	v_mfma_f32_16x16x32_bf16 v[150:153], a[196:199], v[26:29], v[150:153]// 000000004390: D3B50096 0E5A35C4
	ds_read_b128 a[108:111], v14 offset:9216                   // 000000004398: DBFE2400 6C00000E
	v_mfma_f32_16x16x32_bf16 v[154:157], a[200:203], v[26:29], v[154:157]// 0000000043A0: D3B5009A 0E6A35C8
	ds_read_b128 a[112:115], v14 offset:10240                  // 0000000043A8: DBFE2800 7000000E
	v_mfma_f32_16x16x32_bf16 v[158:161], a[204:207], v[26:29], v[158:161]// 0000000043B0: D3B5009E 0E7A35CC
	ds_read_b128 a[116:119], v14 offset:11264                  // 0000000043B8: DBFE2C00 7400000E
	ds_read_b128 a[120:123], v14 offset:12288                  // 0000000043C0: DBFE3000 7800000E
	ds_read_b128 a[124:127], v14 offset:13312                  // 0000000043C8: DBFE3400 7C00000E
	ds_read_b128 a[128:131], v14 offset:14336                  // 0000000043D0: DBFE3800 8000000E
	ds_read_b128 a[132:135], v14 offset:15360                  // 0000000043D8: DBFE3C00 8400000E
	ds_read_b128 a[136:139], v14 offset:16384                  // 0000000043E0: DBFE4000 8800000E
	ds_read_b128 a[140:143], v14 offset:17408                  // 0000000043E8: DBFE4400 8C00000E
	s_addk_i32 s70, 0x1                                        // 0000000043F0: B7460001
	s_cmp_lt_i32 s70, s71                                      // 0000000043F4: BF044746
	s_cbranch_scc0 label_2B6C                                  // 0000000043F8: BF84029C
	s_waitcnt lgkmcnt(4)                                       // 0000000043FC: BF8CC47F
	v_mfma_f32_16x16x32_bf16 v[26:29], a[72:75], a[0:3], 0     // 000000004400: D3B5001A 1A020148
	v_mul_u32_u24_e64 v25, v18, s68                            // 000000004408: D1080019 00008912
	v_add_u32_e32 v25, v25, v1                                 // 000000004410: 68320319
	buffer_load_dword v17, v21, s[24:27], 0 offen              // 000000004414: E0501000 80061115
	ds_read_b128 a[72:75], v14 offset:18432                    // 00000000441C: DBFE4800 4800000E
	v_mfma_f32_16x16x32_bf16 v[26:29], a[76:79], a[4:7], v[26:29]// 000000004424: D3B5001A 1C6A094C
	s_mov_b32 s56, 0x1d000                                     // 00000000442C: BEB800FF 0001D000
	s_mul_i32 s57, s7, 0x2400                                  // 000000004434: 9239FF07 00002400
	s_add_u32 m0, s56, s57                                     // 00000000443C: 807C3938
	buffer_load_dwordx4 v25, s[20:23], 0 offen lds             // 000000004440: E05D1000 80050019
	s_add_i32 m0, m0, 0x3c0                                    // 000000004448: 817CFF7C 000003C0
	v_mfma_f32_16x16x32_bf16 v[26:29], a[80:83], a[8:11], v[26:29]// 000000004450: D3B5001A 1C6A1150
	ds_read_b128 a[76:79], v14 offset:19456                    // 000000004458: DBFE4C00 4C00000E
	v_mfma_f32_16x16x32_bf16 v[26:29], a[84:87], a[12:15], v[26:29]// 000000004460: D3B5001A 1C6A1954
	buffer_load_dwordx4 v25, s[20:23], 0 offen offset:64 lds   // 000000004468: E05D1040 80050019
	s_add_i32 m0, m0, 0x3c0                                    // 000000004470: 817CFF7C 000003C0
	v_mfma_f32_16x16x32_bf16 v[26:29], a[88:91], a[16:19], v[26:29]// 000000004478: D3B5001A 1C6A2158
	ds_read_b128 a[80:83], v14 offset:20480                    // 000000004480: DBFE5000 5000000E
	v_mfma_f32_16x16x32_bf16 v[26:29], a[92:95], a[20:23], v[26:29]// 000000004488: D3B5001A 1C6A295C
	buffer_load_dwordx4 v25, s[20:23], 0 offen offset:128 lds  // 000000004490: E05D1080 80050019
	s_add_i32 m0, m0, 0x3c0                                    // 000000004498: 817CFF7C 000003C0
	v_mfma_f32_16x16x32_bf16 v[26:29], a[96:99], a[24:27], v[26:29]// 0000000044A0: D3B5001A 1C6A3160
	ds_read_b128 a[84:87], v14 offset:21504                    // 0000000044A8: DBFE5400 5400000E
	v_mfma_f32_16x16x32_bf16 v[26:29], a[100:103], a[28:31], v[26:29]// 0000000044B0: D3B5001A 1C6A3964
	buffer_load_dwordx4 v25, s[20:23], 0 offen offset:192 lds  // 0000000044B8: E05D10C0 80050019
	s_add_i32 m0, m0, 0x3c0                                    // 0000000044C0: 817CFF7C 000003C0
	v_mfma_f32_16x16x32_bf16 v[26:29], a[104:107], a[32:35], v[26:29]// 0000000044C8: D3B5001A 1C6A4168
	ds_read_b128 a[88:91], v14 offset:22528                    // 0000000044D0: DBFE5800 5800000E
	v_mfma_f32_16x16x32_bf16 v[26:29], a[108:111], a[36:39], v[26:29]// 0000000044D8: D3B5001A 1C6A496C
	buffer_load_dwordx4 v25, s[20:23], 0 offen offset:256 lds  // 0000000044E0: E05D1100 80050019
	s_add_i32 m0, m0, 0x3c0                                    // 0000000044E8: 817CFF7C 000003C0
	v_mfma_f32_16x16x32_bf16 v[26:29], a[112:115], a[40:43], v[26:29]// 0000000044F0: D3B5001A 1C6A5170
	ds_read_b128 a[92:95], v14 offset:23552                    // 0000000044F8: DBFE5C00 5C00000E
	v_mfma_f32_16x16x32_bf16 v[26:29], a[116:119], a[44:47], v[26:29]// 000000004500: D3B5001A 1C6A5974
	buffer_load_dwordx4 v25, s[20:23], 0 offen offset:320 lds  // 000000004508: E05D1140 80050019
	s_add_i32 m0, m0, 0x3c0                                    // 000000004510: 817CFF7C 000003C0
	v_mfma_f32_16x16x32_bf16 v[26:29], a[120:123], a[48:51], v[26:29]// 000000004518: D3B5001A 1C6A6178
	ds_read_b128 a[96:99], v14 offset:24576                    // 000000004520: DBFE6000 6000000E
	v_mfma_f32_16x16x32_bf16 v[26:29], a[124:127], a[52:55], v[26:29]// 000000004528: D3B5001A 1C6A697C
	buffer_load_dwordx4 v25, s[20:23], 0 offen offset:384 lds  // 000000004530: E05D1180 80050019
	s_add_i32 m0, m0, 0x3c0                                    // 000000004538: 817CFF7C 000003C0
	v_mfma_f32_16x16x32_bf16 v[26:29], a[128:131], a[56:59], v[26:29]// 000000004540: D3B5001A 1C6A7180
	ds_read_b128 a[100:103], v14 offset:25600                  // 000000004548: DBFE6400 6400000E
	v_mfma_f32_16x16x32_bf16 v[26:29], a[132:135], a[60:63], v[26:29]// 000000004550: D3B5001A 1C6A7984
	buffer_load_dwordx4 v25, s[20:23], 0 offen offset:448 lds  // 000000004558: E05D11C0 80050019
	s_add_i32 m0, m0, 0x3c0                                    // 000000004560: 817CFF7C 000003C0
	v_mfma_f32_16x16x32_bf16 v[26:29], a[136:139], a[64:67], v[26:29]// 000000004568: D3B5001A 1C6A8188
	ds_read_b128 a[104:107], v14 offset:26624                  // 000000004570: DBFE6800 6800000E
	v_mfma_f32_16x16x32_bf16 v[26:29], a[140:143], a[68:71], v[26:29]// 000000004578: D3B5001A 1C6A898C
	buffer_load_dwordx4 v25, s[20:23], 0 offen offset:512 lds  // 000000004580: E05D1200 80050019
	s_add_i32 m0, m0, 0x3c0                                    // 000000004588: 817CFF7C 000003C0
	ds_read_b128 a[108:111], v14 offset:27648                  // 000000004590: DBFE6C00 6C00000E
	ds_read_b128 a[112:115], v14 offset:28672                  // 000000004598: DBFE7000 7000000E
	ds_read_b128 a[116:119], v14 offset:29696                  // 0000000045A0: DBFE7400 7400000E
	ds_read_b128 a[120:123], v14 offset:30720                  // 0000000045A8: DBFE7800 7800000E
	ds_read_b128 a[124:127], v14 offset:31744                  // 0000000045B0: DBFE7C00 7C00000E
	ds_read_b128 a[128:131], v14 offset:32768                  // 0000000045B8: DBFE8000 8000000E
	ds_read_b128 a[132:135], v14 offset:33792                  // 0000000045C0: DBFE8400 8400000E
	ds_read_b128 a[136:139], v14 offset:34816                  // 0000000045C8: DBFE8800 8800000E
	ds_read_b128 a[140:143], v14 offset:35840                  // 0000000045D0: DBFE8C00 8C00000E
	v_add_u32_e32 v21, s73, v21                                // 0000000045D8: 682A2A49
	s_waitcnt lgkmcnt(4)                                       // 0000000045DC: BF8CC47F
	v_mfma_f32_16x16x32_bf16 v[30:33], a[72:75], a[0:3], 0     // 0000000045E0: D3B5001E 1A020148
	ds_read_b64_tr_b16 a[144:145], v6                          // 0000000045E8: DBC60000 90000006
	ds_read_b64_tr_b16 a[146:147], v6 offset:256               // 0000000045F0: DBC60100 92000006
	ds_read_b64_tr_b16 a[148:149], v7                          // 0000000045F8: DBC60000 94000007
	ds_read_b64_tr_b16 a[150:151], v7 offset:256               // 000000004600: DBC60100 96000007
	v_mfma_f32_16x16x32_bf16 v[30:33], a[76:79], a[4:7], v[30:33]// 000000004608: D3B5001E 1C7A094C
	v_mfma_f32_16x16x32_bf16 v[30:33], a[80:83], a[8:11], v[30:33]// 000000004610: D3B5001E 1C7A1150
	ds_read_b64_tr_b16 a[152:153], v6 offset:1024              // 000000004618: DBC60400 98000006
	ds_read_b64_tr_b16 a[154:155], v6 offset:1280              // 000000004620: DBC60500 9A000006
	ds_read_b64_tr_b16 a[156:157], v7 offset:1024              // 000000004628: DBC60400 9C000007
	ds_read_b64_tr_b16 a[158:159], v7 offset:1280              // 000000004630: DBC60500 9E000007
	v_mfma_f32_16x16x32_bf16 v[30:33], a[84:87], a[12:15], v[30:33]// 000000004638: D3B5001E 1C7A1954
	v_mfma_f32_16x16x32_bf16 v[30:33], a[88:91], a[16:19], v[30:33]// 000000004640: D3B5001E 1C7A2158
	ds_read_b64_tr_b16 a[160:161], v6 offset:2048              // 000000004648: DBC60800 A0000006
	ds_read_b64_tr_b16 a[162:163], v6 offset:2304              // 000000004650: DBC60900 A2000006
	ds_read_b64_tr_b16 a[164:165], v7 offset:2048              // 000000004658: DBC60800 A4000007
	ds_read_b64_tr_b16 a[166:167], v7 offset:2304              // 000000004660: DBC60900 A6000007
	v_mfma_f32_16x16x32_bf16 v[30:33], a[92:95], a[20:23], v[30:33]// 000000004668: D3B5001E 1C7A295C
	v_mfma_f32_16x16x32_bf16 v[30:33], a[96:99], a[24:27], v[30:33]// 000000004670: D3B5001E 1C7A3160
	ds_read_b64_tr_b16 a[168:169], v6 offset:3072              // 000000004678: DBC60C00 A8000006
	ds_read_b64_tr_b16 a[170:171], v6 offset:3328              // 000000004680: DBC60D00 AA000006
	ds_read_b64_tr_b16 a[172:173], v7 offset:3072              // 000000004688: DBC60C00 AC000007
	ds_read_b64_tr_b16 a[174:175], v7 offset:3328              // 000000004690: DBC60D00 AE000007
	v_mfma_f32_16x16x32_bf16 v[30:33], a[100:103], a[28:31], v[30:33]// 000000004698: D3B5001E 1C7A3964
	v_mfma_f32_16x16x32_bf16 v[30:33], a[104:107], a[32:35], v[30:33]// 0000000046A0: D3B5001E 1C7A4168
	ds_read_b64_tr_b16 a[176:177], v6 offset:4096              // 0000000046A8: DBC61000 B0000006
	ds_read_b64_tr_b16 a[178:179], v6 offset:4352              // 0000000046B0: DBC61100 B2000006
	ds_read_b64_tr_b16 a[180:181], v7 offset:4096              // 0000000046B8: DBC61000 B4000007
	ds_read_b64_tr_b16 a[182:183], v7 offset:4352              // 0000000046C0: DBC61100 B6000007
	v_mfma_f32_16x16x32_bf16 v[30:33], a[108:111], a[36:39], v[30:33]// 0000000046C8: D3B5001E 1C7A496C
	v_mfma_f32_16x16x32_bf16 v[30:33], a[112:115], a[40:43], v[30:33]// 0000000046D0: D3B5001E 1C7A5170
	ds_read_b64_tr_b16 a[184:185], v6 offset:5120              // 0000000046D8: DBC61400 B8000006
	ds_read_b64_tr_b16 a[186:187], v6 offset:5376              // 0000000046E0: DBC61500 BA000006
	ds_read_b64_tr_b16 a[188:189], v7 offset:5120              // 0000000046E8: DBC61400 BC000007
	ds_read_b64_tr_b16 a[190:191], v7 offset:5376              // 0000000046F0: DBC61500 BE000007
	v_mfma_f32_16x16x32_bf16 v[30:33], a[116:119], a[44:47], v[30:33]// 0000000046F8: D3B5001E 1C7A5974
	v_mfma_f32_16x16x32_bf16 v[30:33], a[120:123], a[48:51], v[30:33]// 000000004700: D3B5001E 1C7A6178
	ds_read_b64_tr_b16 a[192:193], v6 offset:6144              // 000000004708: DBC61800 C0000006
	ds_read_b64_tr_b16 a[194:195], v6 offset:6400              // 000000004710: DBC61900 C2000006
	ds_read_b64_tr_b16 a[196:197], v7 offset:6144              // 000000004718: DBC61800 C4000007
	ds_read_b64_tr_b16 a[198:199], v7 offset:6400              // 000000004720: DBC61900 C6000007
	v_mfma_f32_16x16x32_bf16 v[30:33], a[124:127], a[52:55], v[30:33]// 000000004728: D3B5001E 1C7A697C
	v_mfma_f32_16x16x32_bf16 v[30:33], a[128:131], a[56:59], v[30:33]// 000000004730: D3B5001E 1C7A7180
	ds_read_b64_tr_b16 a[200:201], v6 offset:7168              // 000000004738: DBC61C00 C8000006
	ds_read_b64_tr_b16 a[202:203], v6 offset:7424              // 000000004740: DBC61D00 CA000006
	ds_read_b64_tr_b16 a[204:205], v7 offset:7168              // 000000004748: DBC61C00 CC000007
	ds_read_b64_tr_b16 a[206:207], v7 offset:7424              // 000000004750: DBC61D00 CE000007
	v_mfma_f32_16x16x32_bf16 v[30:33], a[132:135], a[60:63], v[30:33]// 000000004758: D3B5001E 1C7A7984
	v_mfma_f32_16x16x32_bf16 v[30:33], a[136:139], a[64:67], v[30:33]// 000000004760: D3B5001E 1C7A8188
	v_mfma_f32_16x16x32_bf16 v[30:33], a[140:143], a[68:71], v[30:33]// 000000004768: D3B5001E 1C7A898C
	s_cmp_le_i32 s83, s82                                      // 000000004770: BF055253
	s_cbranch_scc1 label_256C                                  // 000000004774: BF85003D
	v_mov_b32_e32 v22, s82                                     // 000000004778: 7E2C0252
	s_sub_u32 s58, s81, s80                                    // 00000000477C: 80BA5051
	s_add_u32 s58, s58, s7                                     // 000000004780: 803A073A
	v_add_u32_e32 v22, s58, v22                                // 000000004784: 682C2C3A
	s_sub_u32 s56, s83, 31                                     // 000000004788: 80B89F53
	v_lshrrev_b32_e32 v162, 4, v0                              // 00000000478C: 21440084
	v_mul_i32_i24_e32 v162, 4, v162                            // 000000004790: 0D454484
	v_add_u32_e32 v162, s56, v162                              // 000000004794: 69454438
	v_add_u32_e32 v163, 1, v162                                // 000000004798: 69474481
	v_add_u32_e32 v164, 2, v162                                // 00000000479C: 69494482
	v_add_u32_e32 v165, 3, v162                                // 0000000047A0: 694B4483
	v_mov_b32_e32 v23, 0xff800000                              // 0000000047A4: 7E2E02FF FF800000
	v_cmp_le_u32_e64 s[36:37], v162, v22                       // 0000000047AC: D0CB0024 00022DA2
	v_add_u32_e32 v162, 16, v162                               // 0000000047B4: 69454490
	s_nop 0                                                    // 0000000047B8: BF800000
	v_cndmask_b32_e64 v26, v23, v26, s[36:37]                  // 0000000047BC: D100001A 00923517
	v_cmp_le_u32_e64 s[36:37], v163, v22                       // 0000000047C4: D0CB0024 00022DA3
	v_add_u32_e32 v163, 16, v163                               // 0000000047CC: 69474690
	s_nop 0                                                    // 0000000047D0: BF800000
	v_cndmask_b32_e64 v27, v23, v27, s[36:37]                  // 0000000047D4: D100001B 00923717
	v_cmp_le_u32_e64 s[36:37], v164, v22                       // 0000000047DC: D0CB0024 00022DA4
	v_add_u32_e32 v164, 16, v164                               // 0000000047E4: 69494890
	s_nop 0                                                    // 0000000047E8: BF800000
	v_cndmask_b32_e64 v28, v23, v28, s[36:37]                  // 0000000047EC: D100001C 00923917
	v_cmp_le_u32_e64 s[36:37], v165, v22                       // 0000000047F4: D0CB0024 00022DA5
	v_add_u32_e32 v165, 16, v165                               // 0000000047FC: 694B4A90
	s_nop 0                                                    // 000000004800: BF800000
	v_cndmask_b32_e64 v29, v23, v29, s[36:37]                  // 000000004804: D100001D 00923B17
	v_cmp_le_u32_e64 s[36:37], v162, v22                       // 00000000480C: D0CB0024 00022DA2
	v_add_u32_e32 v162, 16, v162                               // 000000004814: 69454490
	s_nop 0                                                    // 000000004818: BF800000
	v_cndmask_b32_e64 v30, v23, v30, s[36:37]                  // 00000000481C: D100001E 00923D17
	v_cmp_le_u32_e64 s[36:37], v163, v22                       // 000000004824: D0CB0024 00022DA3
	v_add_u32_e32 v163, 16, v163                               // 00000000482C: 69474690
	s_nop 0                                                    // 000000004830: BF800000
	v_cndmask_b32_e64 v31, v23, v31, s[36:37]                  // 000000004834: D100001F 00923F17
	v_cmp_le_u32_e64 s[36:37], v164, v22                       // 00000000483C: D0CB0024 00022DA4
	v_add_u32_e32 v164, 16, v164                               // 000000004844: 69494890
	s_nop 0                                                    // 000000004848: BF800000
	v_cndmask_b32_e64 v32, v23, v32, s[36:37]                  // 00000000484C: D1000020 00924117
	v_cmp_le_u32_e64 s[36:37], v165, v22                       // 000000004854: D0CB0024 00022DA5
	v_add_u32_e32 v165, 16, v165                               // 00000000485C: 694B4A90
	s_nop 0                                                    // 000000004860: BF800000
	v_cndmask_b32_e64 v33, v23, v33, s[36:37]                  // 000000004864: D1000021 00924317

000000000000486c <label_256C>:
	s_add_u32 s83, s84, s83                                    // 00000000486C: 80535354
	s_nop 2                                                    // 000000004870: BF800002
	v_mov_b32_e32 v23, v26                                     // 000000004874: 7E2E031A
	v_max3_f32 v23, v26, v27, v23                              // 000000004878: D1D30017 045E371A
	v_max3_f32 v23, v28, v29, v23                              // 000000004880: D1D30017 045E3B1C
	v_max3_f32 v23, v30, v31, v23                              // 000000004888: D1D30017 045E3F1E
	v_max3_f32 v23, v32, v33, v23                              // 000000004890: D1D30017 045E4320
	v_mov_b32_e32 v22, v23                                     // 000000004898: 7E2C0317
	v_mov_b32_e32 v23, v23                                     // 00000000489C: 7E2E0317
	s_nop 1                                                    // 0000000048A0: BF800001
	v_permlane16_swap_b32_e32 v22, v23                         // 0000000048A4: 7E2CB317
	v_mov_b32_e32 v25, v22                                     // 0000000048A8: 7E320316
	v_mov_b32_e32 v24, v23                                     // 0000000048AC: 7E300317
	s_nop 1                                                    // 0000000048B0: BF800001
	v_permlane32_swap_b32_e32 v22, v23                         // 0000000048B4: 7E2CB517
	v_permlane32_swap_b32_e32 v24, v25                         // 0000000048B8: 7E30B519
	v_max3_f32 v23, v22, v23, v23                              // 0000000048BC: D1D30017 045E2F16
	v_max3_f32 v23, v24, v25, v23                              // 0000000048C4: D1D30017 045E3318
	v_mov_b32_e32 v22, 0xff800000                              // 0000000048CC: 7E2C02FF FF800000
	v_cmp_eq_u32_e64 s[36:37], v22, v2                         // 0000000048D4: D0CA0024 00020516
	v_max_f32_e32 v23, v23, v2                                 // 0000000048DC: 162E0517
	v_sub_f32_e32 v12, v2, v23                                 // 0000000048E0: 04182F02
	v_cndmask_b32_e64 v12, v12, 0, s[36:37]                    // 0000000048E4: D100000C 0091010C
	v_mov_b32_e32 v2, v23                                      // 0000000048EC: 7E040317
	v_mul_f32_e32 v23, s5, v23                                 // 0000000048F0: 0A2E2E05
	v_mul_f32_e32 v12, s5, v12                                 // 0000000048F4: 0A181805
	v_exp_f32_e32 v12, v12                                     // 0000000048F8: 7E18410C
	v_fma_f32 v26, v26, s5, -v23                               // 0000000048FC: D1CB001A 845C0B1A
	v_fma_f32 v27, v27, s5, -v23                               // 000000004904: D1CB001B 845C0B1B
	v_fma_f32 v28, v28, s5, -v23                               // 00000000490C: D1CB001C 845C0B1C
	v_fma_f32 v29, v29, s5, -v23                               // 000000004914: D1CB001D 845C0B1D
	v_fma_f32 v30, v30, s5, -v23                               // 00000000491C: D1CB001E 845C0B1E
	v_fma_f32 v31, v31, s5, -v23                               // 000000004924: D1CB001F 845C0B1F
	v_fma_f32 v32, v32, s5, -v23                               // 00000000492C: D1CB0020 845C0B20
	v_fma_f32 v33, v33, s5, -v23                               // 000000004934: D1CB0021 845C0B21
	v_exp_f32_e32 v26, v26                                     // 00000000493C: 7E34411A
	v_exp_f32_e32 v27, v27                                     // 000000004940: 7E36411B
	v_exp_f32_e32 v28, v28                                     // 000000004944: 7E38411C
	v_exp_f32_e32 v29, v29                                     // 000000004948: 7E3A411D
	v_exp_f32_e32 v30, v30                                     // 00000000494C: 7E3C411E
	v_exp_f32_e32 v31, v31                                     // 000000004950: 7E3E411F
	v_exp_f32_e32 v32, v32                                     // 000000004954: 7E404120
	v_exp_f32_e32 v33, v33                                     // 000000004958: 7E424121
	v_mul_f32_e32 v4, v12, v4                                  // 00000000495C: 0A08090C
	v_mov_b32_e32 v22, v26                                     // 000000004960: 7E2C031A
	v_add_f32_e32 v22, v27, v22                                // 000000004964: 022C2D1B
	v_add_f32_e32 v22, v28, v22                                // 000000004968: 022C2D1C
	v_add_f32_e32 v22, v29, v22                                // 00000000496C: 022C2D1D
	v_add_f32_e32 v22, v30, v22                                // 000000004970: 022C2D1E
	v_add_f32_e32 v22, v31, v22                                // 000000004974: 022C2D1F
	v_add_f32_e32 v22, v32, v22                                // 000000004978: 022C2D20
	v_add_f32_e32 v22, v33, v22                                // 00000000497C: 022C2D21
	v_add_f32_e32 v4, v22, v4                                  // 000000004980: 02080916
	v_cvt_pk_bf16_f32 v26, v26, v27                            // 000000004984: D268001A 0002371A
	v_cvt_pk_bf16_f32 v27, v28, v29                            // 00000000498C: D268001B 00023B1C
	v_cvt_pk_bf16_f32 v28, v30, v31                            // 000000004994: D268001C 00023F1E
	v_cvt_pk_bf16_f32 v29, v32, v33                            // 00000000499C: D268001D 00024320
	s_nop 0                                                    // 0000000049A4: BF800000
	v_permlane32_swap_b32_e32 v26, v28                         // 0000000049A8: 7E34B51C
	v_permlane32_swap_b32_e32 v27, v29                         // 0000000049AC: 7E36B51D
	s_nop 0                                                    // 0000000049B0: BF800000
	v_permlane16_swap_b32_e32 v26, v28                         // 0000000049B4: 7E34B31C
	v_permlane16_swap_b32_e32 v27, v29                         // 0000000049B8: 7E36B31D
	v_mul_f32_e32 v34, v12, v34                                // 0000000049BC: 0A44450C
	v_mul_f32_e32 v35, v12, v35                                // 0000000049C0: 0A46470C
	v_mul_f32_e32 v36, v12, v36                                // 0000000049C4: 0A48490C
	v_mul_f32_e32 v37, v12, v37                                // 0000000049C8: 0A4A4B0C
	v_mul_f32_e32 v38, v12, v38                                // 0000000049CC: 0A4C4D0C
	v_mul_f32_e32 v39, v12, v39                                // 0000000049D0: 0A4E4F0C
	v_mul_f32_e32 v40, v12, v40                                // 0000000049D4: 0A50510C
	v_mul_f32_e32 v41, v12, v41                                // 0000000049D8: 0A52530C
	v_mul_f32_e32 v42, v12, v42                                // 0000000049DC: 0A54550C
	v_mul_f32_e32 v43, v12, v43                                // 0000000049E0: 0A56570C
	v_mul_f32_e32 v44, v12, v44                                // 0000000049E4: 0A58590C
	v_mul_f32_e32 v45, v12, v45                                // 0000000049E8: 0A5A5B0C
	v_mul_f32_e32 v46, v12, v46                                // 0000000049EC: 0A5C5D0C
	v_mul_f32_e32 v47, v12, v47                                // 0000000049F0: 0A5E5F0C
	v_mul_f32_e32 v48, v12, v48                                // 0000000049F4: 0A60610C
	v_mul_f32_e32 v49, v12, v49                                // 0000000049F8: 0A62630C
	v_mul_f32_e32 v50, v12, v50                                // 0000000049FC: 0A64650C
	v_mul_f32_e32 v51, v12, v51                                // 000000004A00: 0A66670C
	v_mul_f32_e32 v52, v12, v52                                // 000000004A04: 0A68690C
	v_mul_f32_e32 v53, v12, v53                                // 000000004A08: 0A6A6B0C
	v_mul_f32_e32 v54, v12, v54                                // 000000004A0C: 0A6C6D0C
	v_mul_f32_e32 v55, v12, v55                                // 000000004A10: 0A6E6F0C
	v_mul_f32_e32 v56, v12, v56                                // 000000004A14: 0A70710C
	v_mul_f32_e32 v57, v12, v57                                // 000000004A18: 0A72730C
	v_mul_f32_e32 v58, v12, v58                                // 000000004A1C: 0A74750C
	v_mul_f32_e32 v59, v12, v59                                // 000000004A20: 0A76770C
	v_mul_f32_e32 v60, v12, v60                                // 000000004A24: 0A78790C
	v_mul_f32_e32 v61, v12, v61                                // 000000004A28: 0A7A7B0C
	v_mul_f32_e32 v62, v12, v62                                // 000000004A2C: 0A7C7D0C
	v_mul_f32_e32 v63, v12, v63                                // 000000004A30: 0A7E7F0C
	v_mul_f32_e32 v64, v12, v64                                // 000000004A34: 0A80810C
	v_mul_f32_e32 v65, v12, v65                                // 000000004A38: 0A82830C
	v_mul_f32_e32 v66, v12, v66                                // 000000004A3C: 0A84850C
	v_mul_f32_e32 v67, v12, v67                                // 000000004A40: 0A86870C
	v_mul_f32_e32 v68, v12, v68                                // 000000004A44: 0A88890C
	v_mul_f32_e32 v69, v12, v69                                // 000000004A48: 0A8A8B0C
	v_mul_f32_e32 v70, v12, v70                                // 000000004A4C: 0A8C8D0C
	v_mul_f32_e32 v71, v12, v71                                // 000000004A50: 0A8E8F0C
	v_mul_f32_e32 v72, v12, v72                                // 000000004A54: 0A90910C
	v_mul_f32_e32 v73, v12, v73                                // 000000004A58: 0A92930C
	v_mul_f32_e32 v74, v12, v74                                // 000000004A5C: 0A94950C
	v_mul_f32_e32 v75, v12, v75                                // 000000004A60: 0A96970C
	v_mul_f32_e32 v76, v12, v76                                // 000000004A64: 0A98990C
	v_mul_f32_e32 v77, v12, v77                                // 000000004A68: 0A9A9B0C
	v_mul_f32_e32 v78, v12, v78                                // 000000004A6C: 0A9C9D0C
	v_mul_f32_e32 v79, v12, v79                                // 000000004A70: 0A9E9F0C
	v_mul_f32_e32 v80, v12, v80                                // 000000004A74: 0AA0A10C
	v_mul_f32_e32 v81, v12, v81                                // 000000004A78: 0AA2A30C
	v_mul_f32_e32 v82, v12, v82                                // 000000004A7C: 0AA4A50C
	v_mul_f32_e32 v83, v12, v83                                // 000000004A80: 0AA6A70C
	v_mul_f32_e32 v84, v12, v84                                // 000000004A84: 0AA8A90C
	v_mul_f32_e32 v85, v12, v85                                // 000000004A88: 0AAAAB0C
	v_mul_f32_e32 v86, v12, v86                                // 000000004A8C: 0AACAD0C
	v_mul_f32_e32 v87, v12, v87                                // 000000004A90: 0AAEAF0C
	v_mul_f32_e32 v88, v12, v88                                // 000000004A94: 0AB0B10C
	v_mul_f32_e32 v89, v12, v89                                // 000000004A98: 0AB2B30C
	v_mul_f32_e32 v90, v12, v90                                // 000000004A9C: 0AB4B50C
	v_mul_f32_e32 v91, v12, v91                                // 000000004AA0: 0AB6B70C
	v_mul_f32_e32 v92, v12, v92                                // 000000004AA4: 0AB8B90C
	v_mul_f32_e32 v93, v12, v93                                // 000000004AA8: 0ABABB0C
	v_mul_f32_e32 v94, v12, v94                                // 000000004AAC: 0ABCBD0C
	v_mul_f32_e32 v95, v12, v95                                // 000000004AB0: 0ABEBF0C
	v_mul_f32_e32 v96, v12, v96                                // 000000004AB4: 0AC0C10C
	v_mul_f32_e32 v97, v12, v97                                // 000000004AB8: 0AC2C30C
	v_mul_f32_e32 v98, v12, v98                                // 000000004ABC: 0AC4C50C
	v_mul_f32_e32 v99, v12, v99                                // 000000004AC0: 0AC6C70C
	v_mul_f32_e32 v100, v12, v100                              // 000000004AC4: 0AC8C90C
	v_mul_f32_e32 v101, v12, v101                              // 000000004AC8: 0ACACB0C
	v_mul_f32_e32 v102, v12, v102                              // 000000004ACC: 0ACCCD0C
	v_mul_f32_e32 v103, v12, v103                              // 000000004AD0: 0ACECF0C
	v_mul_f32_e32 v104, v12, v104                              // 000000004AD4: 0AD0D10C
	v_mul_f32_e32 v105, v12, v105                              // 000000004AD8: 0AD2D30C
	v_mul_f32_e32 v106, v12, v106                              // 000000004ADC: 0AD4D50C
	v_mul_f32_e32 v107, v12, v107                              // 000000004AE0: 0AD6D70C
	v_mul_f32_e32 v108, v12, v108                              // 000000004AE4: 0AD8D90C
	v_mul_f32_e32 v109, v12, v109                              // 000000004AE8: 0ADADB0C
	v_mul_f32_e32 v110, v12, v110                              // 000000004AEC: 0ADCDD0C
	v_mul_f32_e32 v111, v12, v111                              // 000000004AF0: 0ADEDF0C
	v_mul_f32_e32 v112, v12, v112                              // 000000004AF4: 0AE0E10C
	v_mul_f32_e32 v113, v12, v113                              // 000000004AF8: 0AE2E30C
	v_mul_f32_e32 v114, v12, v114                              // 000000004AFC: 0AE4E50C
	v_mul_f32_e32 v115, v12, v115                              // 000000004B00: 0AE6E70C
	v_mul_f32_e32 v116, v12, v116                              // 000000004B04: 0AE8E90C
	v_mul_f32_e32 v117, v12, v117                              // 000000004B08: 0AEAEB0C
	v_mul_f32_e32 v118, v12, v118                              // 000000004B0C: 0AECED0C
	v_mul_f32_e32 v119, v12, v119                              // 000000004B10: 0AEEEF0C
	v_mul_f32_e32 v120, v12, v120                              // 000000004B14: 0AF0F10C
	v_mul_f32_e32 v121, v12, v121                              // 000000004B18: 0AF2F30C
	v_mul_f32_e32 v122, v12, v122                              // 000000004B1C: 0AF4F50C
	v_mul_f32_e32 v123, v12, v123                              // 000000004B20: 0AF6F70C
	v_mul_f32_e32 v124, v12, v124                              // 000000004B24: 0AF8F90C
	v_mul_f32_e32 v125, v12, v125                              // 000000004B28: 0AFAFB0C
	v_mul_f32_e32 v126, v12, v126                              // 000000004B2C: 0AFCFD0C
	v_mul_f32_e32 v127, v12, v127                              // 000000004B30: 0AFEFF0C
	v_mul_f32_e32 v128, v12, v128                              // 000000004B34: 0B01010C
	v_mul_f32_e32 v129, v12, v129                              // 000000004B38: 0B03030C
	v_mul_f32_e32 v130, v12, v130                              // 000000004B3C: 0B05050C
	v_mul_f32_e32 v131, v12, v131                              // 000000004B40: 0B07070C
	v_mul_f32_e32 v132, v12, v132                              // 000000004B44: 0B09090C
	v_mul_f32_e32 v133, v12, v133                              // 000000004B48: 0B0B0B0C
	v_mul_f32_e32 v134, v12, v134                              // 000000004B4C: 0B0D0D0C
	v_mul_f32_e32 v135, v12, v135                              // 000000004B50: 0B0F0F0C
	v_mul_f32_e32 v136, v12, v136                              // 000000004B54: 0B11110C
	v_mul_f32_e32 v137, v12, v137                              // 000000004B58: 0B13130C
	v_mul_f32_e32 v138, v12, v138                              // 000000004B5C: 0B15150C
	v_mul_f32_e32 v139, v12, v139                              // 000000004B60: 0B17170C
	v_mul_f32_e32 v140, v12, v140                              // 000000004B64: 0B19190C
	v_mul_f32_e32 v141, v12, v141                              // 000000004B68: 0B1B1B0C
	v_mul_f32_e32 v142, v12, v142                              // 000000004B6C: 0B1D1D0C
	v_mul_f32_e32 v143, v12, v143                              // 000000004B70: 0B1F1F0C
	v_mul_f32_e32 v144, v12, v144                              // 000000004B74: 0B21210C
	v_mul_f32_e32 v145, v12, v145                              // 000000004B78: 0B23230C
	v_mul_f32_e32 v146, v12, v146                              // 000000004B7C: 0B25250C
	v_mul_f32_e32 v147, v12, v147                              // 000000004B80: 0B27270C
	v_mul_f32_e32 v148, v12, v148                              // 000000004B84: 0B29290C
	v_mul_f32_e32 v149, v12, v149                              // 000000004B88: 0B2B2B0C
	v_mul_f32_e32 v150, v12, v150                              // 000000004B8C: 0B2D2D0C
	v_mul_f32_e32 v151, v12, v151                              // 000000004B90: 0B2F2F0C
	v_mul_f32_e32 v152, v12, v152                              // 000000004B94: 0B31310C
	v_mul_f32_e32 v153, v12, v153                              // 000000004B98: 0B33330C
	v_mul_f32_e32 v154, v12, v154                              // 000000004B9C: 0B35350C
	v_mul_f32_e32 v155, v12, v155                              // 000000004BA0: 0B37370C
	v_mul_f32_e32 v156, v12, v156                              // 000000004BA4: 0B39390C
	v_mul_f32_e32 v157, v12, v157                              // 000000004BA8: 0B3B3B0C
	v_mul_f32_e32 v158, v12, v158                              // 000000004BAC: 0B3D3D0C
	v_mul_f32_e32 v159, v12, v159                              // 000000004BB0: 0B3F3F0C
	v_mul_f32_e32 v160, v12, v160                              // 000000004BB4: 0B41410C
	v_mul_f32_e32 v161, v12, v161                              // 000000004BB8: 0B43430C
	s_waitcnt lgkmcnt(0)                                       // 000000004BBC: BF8CC07F
	v_mfma_f32_16x16x32_bf16 v[34:37], a[144:147], v[26:29], v[34:37]// 000000004BC0: D3B50022 0C8A3590
	v_mfma_f32_16x16x32_bf16 v[38:41], a[148:151], v[26:29], v[38:41]// 000000004BC8: D3B50026 0C9A3594
	v_mfma_f32_16x16x32_bf16 v[42:45], a[152:155], v[26:29], v[42:45]// 000000004BD0: D3B5002A 0CAA3598
	v_mfma_f32_16x16x32_bf16 v[46:49], a[156:159], v[26:29], v[46:49]// 000000004BD8: D3B5002E 0CBA359C
	v_mfma_f32_16x16x32_bf16 v[50:53], a[160:163], v[26:29], v[50:53]// 000000004BE0: D3B50032 0CCA35A0
	v_mfma_f32_16x16x32_bf16 v[54:57], a[164:167], v[26:29], v[54:57]// 000000004BE8: D3B50036 0CDA35A4
	v_mfma_f32_16x16x32_bf16 v[58:61], a[168:171], v[26:29], v[58:61]// 000000004BF0: D3B5003A 0CEA35A8
	v_mfma_f32_16x16x32_bf16 v[62:65], a[172:175], v[26:29], v[62:65]// 000000004BF8: D3B5003E 0CFA35AC
	v_mfma_f32_16x16x32_bf16 v[66:69], a[176:179], v[26:29], v[66:69]// 000000004C00: D3B50042 0D0A35B0
	v_mfma_f32_16x16x32_bf16 v[70:73], a[180:183], v[26:29], v[70:73]// 000000004C08: D3B50046 0D1A35B4
	v_mfma_f32_16x16x32_bf16 v[74:77], a[184:187], v[26:29], v[74:77]// 000000004C10: D3B5004A 0D2A35B8
	ds_read_b64_tr_b16 a[144:145], v6 offset:8192              // 000000004C18: DBC62000 90000006
	ds_read_b64_tr_b16 a[146:147], v6 offset:8448              // 000000004C20: DBC62100 92000006
	ds_read_b64_tr_b16 a[148:149], v7 offset:8192              // 000000004C28: DBC62000 94000007
	ds_read_b64_tr_b16 a[150:151], v7 offset:8448              // 000000004C30: DBC62100 96000007
	v_mfma_f32_16x16x32_bf16 v[78:81], a[188:191], v[26:29], v[78:81]// 000000004C38: D3B5004E 0D3A35BC
	ds_read_b64_tr_b16 a[152:153], v6 offset:9216              // 000000004C40: DBC62400 98000006
	ds_read_b64_tr_b16 a[154:155], v6 offset:9472              // 000000004C48: DBC62500 9A000006
	ds_read_b64_tr_b16 a[156:157], v7 offset:9216              // 000000004C50: DBC62400 9C000007
	ds_read_b64_tr_b16 a[158:159], v7 offset:9472              // 000000004C58: DBC62500 9E000007
	v_mfma_f32_16x16x32_bf16 v[82:85], a[192:195], v[26:29], v[82:85]// 000000004C60: D3B50052 0D4A35C0
	ds_read_b64_tr_b16 a[160:161], v6 offset:10240             // 000000004C68: DBC62800 A0000006
	ds_read_b64_tr_b16 a[162:163], v6 offset:10496             // 000000004C70: DBC62900 A2000006
	ds_read_b64_tr_b16 a[164:165], v7 offset:10240             // 000000004C78: DBC62800 A4000007
	ds_read_b64_tr_b16 a[166:167], v7 offset:10496             // 000000004C80: DBC62900 A6000007
	v_mfma_f32_16x16x32_bf16 v[86:89], a[196:199], v[26:29], v[86:89]// 000000004C88: D3B50056 0D5A35C4
	ds_read_b64_tr_b16 a[168:169], v6 offset:11264             // 000000004C90: DBC62C00 A8000006
	ds_read_b64_tr_b16 a[170:171], v6 offset:11520             // 000000004C98: DBC62D00 AA000006
	ds_read_b64_tr_b16 a[172:173], v7 offset:11264             // 000000004CA0: DBC62C00 AC000007
	ds_read_b64_tr_b16 a[174:175], v7 offset:11520             // 000000004CA8: DBC62D00 AE000007
	v_mfma_f32_16x16x32_bf16 v[90:93], a[200:203], v[26:29], v[90:93]// 000000004CB0: D3B5005A 0D6A35C8
	ds_read_b64_tr_b16 a[176:177], v6 offset:12288             // 000000004CB8: DBC63000 B0000006
	ds_read_b64_tr_b16 a[178:179], v6 offset:12544             // 000000004CC0: DBC63100 B2000006
	ds_read_b64_tr_b16 a[180:181], v7 offset:12288             // 000000004CC8: DBC63000 B4000007
	ds_read_b64_tr_b16 a[182:183], v7 offset:12544             // 000000004CD0: DBC63100 B6000007
	v_mfma_f32_16x16x32_bf16 v[94:97], a[204:207], v[26:29], v[94:97]// 000000004CD8: D3B5005E 0D7A35CC
	ds_read_b64_tr_b16 a[184:185], v6 offset:13312             // 000000004CE0: DBC63400 B8000006
	ds_read_b64_tr_b16 a[186:187], v6 offset:13568             // 000000004CE8: DBC63500 BA000006
	ds_read_b64_tr_b16 a[188:189], v7 offset:13312             // 000000004CF0: DBC63400 BC000007
	ds_read_b64_tr_b16 a[190:191], v7 offset:13568             // 000000004CF8: DBC63500 BE000007
	ds_read_b64_tr_b16 a[192:193], v6 offset:14336             // 000000004D00: DBC63800 C0000006
	ds_read_b64_tr_b16 a[194:195], v6 offset:14592             // 000000004D08: DBC63900 C2000006
	ds_read_b64_tr_b16 a[196:197], v7 offset:14336             // 000000004D10: DBC63800 C4000007
	ds_read_b64_tr_b16 a[198:199], v7 offset:14592             // 000000004D18: DBC63900 C6000007
	ds_read_b64_tr_b16 a[200:201], v6 offset:15360             // 000000004D20: DBC63C00 C8000006
	ds_read_b64_tr_b16 a[202:203], v6 offset:15616             // 000000004D28: DBC63D00 CA000006
	ds_read_b64_tr_b16 a[204:205], v7 offset:15360             // 000000004D30: DBC63C00 CC000007
	ds_read_b64_tr_b16 a[206:207], v7 offset:15616             // 000000004D38: DBC63D00 CE000007
	s_waitcnt lgkmcnt(0)                                       // 000000004D40: BF8CC07F
	v_mfma_f32_16x16x32_bf16 v[98:101], a[144:147], v[26:29], v[98:101]// 000000004D44: D3B50062 0D8A3590
	v_mfma_f32_16x16x32_bf16 v[102:105], a[148:151], v[26:29], v[102:105]// 000000004D4C: D3B50066 0D9A3594
	v_mfma_f32_16x16x32_bf16 v[106:109], a[152:155], v[26:29], v[106:109]// 000000004D54: D3B5006A 0DAA3598
	v_mfma_f32_16x16x32_bf16 v[110:113], a[156:159], v[26:29], v[110:113]// 000000004D5C: D3B5006E 0DBA359C
	v_mfma_f32_16x16x32_bf16 v[114:117], a[160:163], v[26:29], v[114:117]// 000000004D64: D3B50072 0DCA35A0
	s_waitcnt vmcnt(10)                                        // 000000004D6C: BF8C0F7A
	s_barrier                                                  // 000000004D70: BF8A0000
	ds_read_b128 a[72:75], v15                                 // 000000004D74: DBFE0000 4800000F
	v_mfma_f32_16x16x32_bf16 v[118:121], a[164:167], v[26:29], v[118:121]// 000000004D7C: D3B50076 0DDA35A4
	ds_read_b128 a[76:79], v15 offset:1024                     // 000000004D84: DBFE0400 4C00000F
	v_mfma_f32_16x16x32_bf16 v[122:125], a[168:171], v[26:29], v[122:125]// 000000004D8C: D3B5007A 0DEA35A8
	ds_read_b128 a[80:83], v15 offset:2048                     // 000000004D94: DBFE0800 5000000F
	v_mfma_f32_16x16x32_bf16 v[126:129], a[172:175], v[26:29], v[126:129]// 000000004D9C: D3B5007E 0DFA35AC
	ds_read_b128 a[84:87], v15 offset:3072                     // 000000004DA4: DBFE0C00 5400000F
	v_mfma_f32_16x16x32_bf16 v[130:133], a[176:179], v[26:29], v[130:133]// 000000004DAC: D3B50082 0E0A35B0
	ds_read_b128 a[88:91], v15 offset:4096                     // 000000004DB4: DBFE1000 5800000F
	v_mfma_f32_16x16x32_bf16 v[134:137], a[180:183], v[26:29], v[134:137]// 000000004DBC: D3B50086 0E1A35B4
	ds_read_b128 a[92:95], v15 offset:5120                     // 000000004DC4: DBFE1400 5C00000F
	v_mfma_f32_16x16x32_bf16 v[138:141], a[184:187], v[26:29], v[138:141]// 000000004DCC: D3B5008A 0E2A35B8
	ds_read_b128 a[96:99], v15 offset:6144                     // 000000004DD4: DBFE1800 6000000F
	v_mfma_f32_16x16x32_bf16 v[142:145], a[188:191], v[26:29], v[142:145]// 000000004DDC: D3B5008E 0E3A35BC
	ds_read_b128 a[100:103], v15 offset:7168                   // 000000004DE4: DBFE1C00 6400000F
	v_mfma_f32_16x16x32_bf16 v[146:149], a[192:195], v[26:29], v[146:149]// 000000004DEC: D3B50092 0E4A35C0
	ds_read_b128 a[104:107], v15 offset:8192                   // 000000004DF4: DBFE2000 6800000F
	v_mfma_f32_16x16x32_bf16 v[150:153], a[196:199], v[26:29], v[150:153]// 000000004DFC: D3B50096 0E5A35C4
	ds_read_b128 a[108:111], v15 offset:9216                   // 000000004E04: DBFE2400 6C00000F
	v_mfma_f32_16x16x32_bf16 v[154:157], a[200:203], v[26:29], v[154:157]// 000000004E0C: D3B5009A 0E6A35C8
	ds_read_b128 a[112:115], v15 offset:10240                  // 000000004E14: DBFE2800 7000000F
	v_mfma_f32_16x16x32_bf16 v[158:161], a[204:207], v[26:29], v[158:161]// 000000004E1C: D3B5009E 0E7A35CC
	ds_read_b128 a[116:119], v15 offset:11264                  // 000000004E24: DBFE2C00 7400000F
	ds_read_b128 a[120:123], v15 offset:12288                  // 000000004E2C: DBFE3000 7800000F
	ds_read_b128 a[124:127], v15 offset:13312                  // 000000004E34: DBFE3400 7C00000F
	ds_read_b128 a[128:131], v15 offset:14336                  // 000000004E3C: DBFE3800 8000000F
	ds_read_b128 a[132:135], v15 offset:15360                  // 000000004E44: DBFE3C00 8400000F
	ds_read_b128 a[136:139], v15 offset:16384                  // 000000004E4C: DBFE4000 8800000F
	ds_read_b128 a[140:143], v15 offset:17408                  // 000000004E54: DBFE4400 8C00000F
	s_addk_i32 s70, 0x1                                        // 000000004E5C: B7460001
	s_cmp_lt_i32 s70, s71                                      // 000000004E60: BF044746
	s_cbranch_scc0 label_2B6C                                  // 000000004E64: BF840001
	s_branch label_0C24                                        // 000000004E68: BF82F82E

0000000000004e6c <label_2B6C>:
	s_nop 0                                                    // 000000004E6C: BF800000
	s_nop 0                                                    // 000000004E70: BF800000
	s_branch label_4AC0                                        // 000000004E74: BF8207D2

0000000000004e78 <label_2B78>:
	s_waitcnt lgkmcnt(4)                                       // 000000004E78: BF8CC47F
	v_mfma_f32_16x16x32_bf16 v[26:29], a[72:75], a[0:3], 0     // 000000004E7C: D3B5001A 1A020148
	v_mul_u32_u24_e64 v25, v19, s68                            // 000000004E84: D1080019 00008913
	v_add_u32_e32 v25, v25, v1                                 // 000000004E8C: 68320319
	buffer_load_dword v18, v21, s[24:27], 0 offen              // 000000004E90: E0501000 80061215
	ds_read_b128 a[72:75], v15 offset:18432                    // 000000004E98: DBFE4800 4800000F
	v_mfma_f32_16x16x32_bf16 v[26:29], a[76:79], a[4:7], v[26:29]// 000000004EA0: D3B5001A 1C6A094C
	s_mov_b32 s56, 0xb000                                      // 000000004EA8: BEB800FF 0000B000
	s_mul_i32 s57, s7, 0x2400                                  // 000000004EB0: 9239FF07 00002400
	s_add_u32 m0, s56, s57                                     // 000000004EB8: 807C3938
	buffer_load_dwordx4 v25, s[20:23], 0 offen lds             // 000000004EBC: E05D1000 80050019
	s_add_i32 m0, m0, 0x3c0                                    // 000000004EC4: 817CFF7C 000003C0
	v_mfma_f32_16x16x32_bf16 v[26:29], a[80:83], a[8:11], v[26:29]// 000000004ECC: D3B5001A 1C6A1150
	ds_read_b128 a[76:79], v15 offset:19456                    // 000000004ED4: DBFE4C00 4C00000F
	v_mfma_f32_16x16x32_bf16 v[26:29], a[84:87], a[12:15], v[26:29]// 000000004EDC: D3B5001A 1C6A1954
	buffer_load_dwordx4 v25, s[20:23], 0 offen offset:64 lds   // 000000004EE4: E05D1040 80050019
	s_add_i32 m0, m0, 0x3c0                                    // 000000004EEC: 817CFF7C 000003C0
	v_mfma_f32_16x16x32_bf16 v[26:29], a[88:91], a[16:19], v[26:29]// 000000004EF4: D3B5001A 1C6A2158
	ds_read_b128 a[80:83], v15 offset:20480                    // 000000004EFC: DBFE5000 5000000F
	v_mfma_f32_16x16x32_bf16 v[26:29], a[92:95], a[20:23], v[26:29]// 000000004F04: D3B5001A 1C6A295C
	buffer_load_dwordx4 v25, s[20:23], 0 offen offset:128 lds  // 000000004F0C: E05D1080 80050019
	s_add_i32 m0, m0, 0x3c0                                    // 000000004F14: 817CFF7C 000003C0
	v_mfma_f32_16x16x32_bf16 v[26:29], a[96:99], a[24:27], v[26:29]// 000000004F1C: D3B5001A 1C6A3160
	ds_read_b128 a[84:87], v15 offset:21504                    // 000000004F24: DBFE5400 5400000F
	v_mfma_f32_16x16x32_bf16 v[26:29], a[100:103], a[28:31], v[26:29]// 000000004F2C: D3B5001A 1C6A3964
	buffer_load_dwordx4 v25, s[20:23], 0 offen offset:192 lds  // 000000004F34: E05D10C0 80050019
	s_add_i32 m0, m0, 0x3c0                                    // 000000004F3C: 817CFF7C 000003C0
	v_mfma_f32_16x16x32_bf16 v[26:29], a[104:107], a[32:35], v[26:29]// 000000004F44: D3B5001A 1C6A4168
	ds_read_b128 a[88:91], v15 offset:22528                    // 000000004F4C: DBFE5800 5800000F
	v_mfma_f32_16x16x32_bf16 v[26:29], a[108:111], a[36:39], v[26:29]// 000000004F54: D3B5001A 1C6A496C
	buffer_load_dwordx4 v25, s[20:23], 0 offen offset:256 lds  // 000000004F5C: E05D1100 80050019
	s_add_i32 m0, m0, 0x3c0                                    // 000000004F64: 817CFF7C 000003C0
	v_mfma_f32_16x16x32_bf16 v[26:29], a[112:115], a[40:43], v[26:29]// 000000004F6C: D3B5001A 1C6A5170
	ds_read_b128 a[92:95], v15 offset:23552                    // 000000004F74: DBFE5C00 5C00000F
	v_mfma_f32_16x16x32_bf16 v[26:29], a[116:119], a[44:47], v[26:29]// 000000004F7C: D3B5001A 1C6A5974
	buffer_load_dwordx4 v25, s[20:23], 0 offen offset:320 lds  // 000000004F84: E05D1140 80050019
	s_add_i32 m0, m0, 0x3c0                                    // 000000004F8C: 817CFF7C 000003C0
	v_mfma_f32_16x16x32_bf16 v[26:29], a[120:123], a[48:51], v[26:29]// 000000004F94: D3B5001A 1C6A6178
	ds_read_b128 a[96:99], v15 offset:24576                    // 000000004F9C: DBFE6000 6000000F
	v_mfma_f32_16x16x32_bf16 v[26:29], a[124:127], a[52:55], v[26:29]// 000000004FA4: D3B5001A 1C6A697C
	buffer_load_dwordx4 v25, s[20:23], 0 offen offset:384 lds  // 000000004FAC: E05D1180 80050019
	s_add_i32 m0, m0, 0x3c0                                    // 000000004FB4: 817CFF7C 000003C0
	v_mfma_f32_16x16x32_bf16 v[26:29], a[128:131], a[56:59], v[26:29]// 000000004FBC: D3B5001A 1C6A7180
	ds_read_b128 a[100:103], v15 offset:25600                  // 000000004FC4: DBFE6400 6400000F
	v_mfma_f32_16x16x32_bf16 v[26:29], a[132:135], a[60:63], v[26:29]// 000000004FCC: D3B5001A 1C6A7984
	buffer_load_dwordx4 v25, s[20:23], 0 offen offset:448 lds  // 000000004FD4: E05D11C0 80050019
	s_add_i32 m0, m0, 0x3c0                                    // 000000004FDC: 817CFF7C 000003C0
	v_mfma_f32_16x16x32_bf16 v[26:29], a[136:139], a[64:67], v[26:29]// 000000004FE4: D3B5001A 1C6A8188
	ds_read_b128 a[104:107], v15 offset:26624                  // 000000004FEC: DBFE6800 6800000F
	v_mfma_f32_16x16x32_bf16 v[26:29], a[140:143], a[68:71], v[26:29]// 000000004FF4: D3B5001A 1C6A898C
	buffer_load_dwordx4 v25, s[20:23], 0 offen offset:512 lds  // 000000004FFC: E05D1200 80050019
	s_add_i32 m0, m0, 0x3c0                                    // 000000005004: 817CFF7C 000003C0
	ds_read_b128 a[108:111], v15 offset:27648                  // 00000000500C: DBFE6C00 6C00000F
	ds_read_b128 a[112:115], v15 offset:28672                  // 000000005014: DBFE7000 7000000F
	ds_read_b128 a[116:119], v15 offset:29696                  // 00000000501C: DBFE7400 7400000F
	ds_read_b128 a[120:123], v15 offset:30720                  // 000000005024: DBFE7800 7800000F
	ds_read_b128 a[124:127], v15 offset:31744                  // 00000000502C: DBFE7C00 7C00000F
	ds_read_b128 a[128:131], v15 offset:32768                  // 000000005034: DBFE8000 8000000F
	ds_read_b128 a[132:135], v15 offset:33792                  // 00000000503C: DBFE8400 8400000F
	ds_read_b128 a[136:139], v15 offset:34816                  // 000000005044: DBFE8800 8800000F
	ds_read_b128 a[140:143], v15 offset:35840                  // 00000000504C: DBFE8C00 8C00000F
	v_add_u32_e32 v21, s73, v21                                // 000000005054: 682A2A49
	s_waitcnt lgkmcnt(4)                                       // 000000005058: BF8CC47F
	v_mfma_f32_16x16x32_bf16 v[30:33], a[72:75], a[0:3], 0     // 00000000505C: D3B5001E 1A020148
	ds_read_b64_tr_b16 a[144:145], v8                          // 000000005064: DBC60000 90000008
	ds_read_b64_tr_b16 a[146:147], v8 offset:256               // 00000000506C: DBC60100 92000008
	ds_read_b64_tr_b16 a[148:149], v9                          // 000000005074: DBC60000 94000009
	ds_read_b64_tr_b16 a[150:151], v9 offset:256               // 00000000507C: DBC60100 96000009
	v_mfma_f32_16x16x32_bf16 v[30:33], a[76:79], a[4:7], v[30:33]// 000000005084: D3B5001E 1C7A094C
	v_mfma_f32_16x16x32_bf16 v[30:33], a[80:83], a[8:11], v[30:33]// 00000000508C: D3B5001E 1C7A1150
	ds_read_b64_tr_b16 a[152:153], v8 offset:1024              // 000000005094: DBC60400 98000008
	ds_read_b64_tr_b16 a[154:155], v8 offset:1280              // 00000000509C: DBC60500 9A000008
	ds_read_b64_tr_b16 a[156:157], v9 offset:1024              // 0000000050A4: DBC60400 9C000009
	ds_read_b64_tr_b16 a[158:159], v9 offset:1280              // 0000000050AC: DBC60500 9E000009
	v_mfma_f32_16x16x32_bf16 v[30:33], a[84:87], a[12:15], v[30:33]// 0000000050B4: D3B5001E 1C7A1954
	v_mfma_f32_16x16x32_bf16 v[30:33], a[88:91], a[16:19], v[30:33]// 0000000050BC: D3B5001E 1C7A2158
	ds_read_b64_tr_b16 a[160:161], v8 offset:2048              // 0000000050C4: DBC60800 A0000008
	ds_read_b64_tr_b16 a[162:163], v8 offset:2304              // 0000000050CC: DBC60900 A2000008
	ds_read_b64_tr_b16 a[164:165], v9 offset:2048              // 0000000050D4: DBC60800 A4000009
	ds_read_b64_tr_b16 a[166:167], v9 offset:2304              // 0000000050DC: DBC60900 A6000009
	v_mfma_f32_16x16x32_bf16 v[30:33], a[92:95], a[20:23], v[30:33]// 0000000050E4: D3B5001E 1C7A295C
	v_mfma_f32_16x16x32_bf16 v[30:33], a[96:99], a[24:27], v[30:33]// 0000000050EC: D3B5001E 1C7A3160
	ds_read_b64_tr_b16 a[168:169], v8 offset:3072              // 0000000050F4: DBC60C00 A8000008
	ds_read_b64_tr_b16 a[170:171], v8 offset:3328              // 0000000050FC: DBC60D00 AA000008
	ds_read_b64_tr_b16 a[172:173], v9 offset:3072              // 000000005104: DBC60C00 AC000009
	ds_read_b64_tr_b16 a[174:175], v9 offset:3328              // 00000000510C: DBC60D00 AE000009
	v_mfma_f32_16x16x32_bf16 v[30:33], a[100:103], a[28:31], v[30:33]// 000000005114: D3B5001E 1C7A3964
	v_mfma_f32_16x16x32_bf16 v[30:33], a[104:107], a[32:35], v[30:33]// 00000000511C: D3B5001E 1C7A4168
	ds_read_b64_tr_b16 a[176:177], v8 offset:4096              // 000000005124: DBC61000 B0000008
	ds_read_b64_tr_b16 a[178:179], v8 offset:4352              // 00000000512C: DBC61100 B2000008
	ds_read_b64_tr_b16 a[180:181], v9 offset:4096              // 000000005134: DBC61000 B4000009
	ds_read_b64_tr_b16 a[182:183], v9 offset:4352              // 00000000513C: DBC61100 B6000009
	v_mfma_f32_16x16x32_bf16 v[30:33], a[108:111], a[36:39], v[30:33]// 000000005144: D3B5001E 1C7A496C
	v_mfma_f32_16x16x32_bf16 v[30:33], a[112:115], a[40:43], v[30:33]// 00000000514C: D3B5001E 1C7A5170
	ds_read_b64_tr_b16 a[184:185], v8 offset:5120              // 000000005154: DBC61400 B8000008
	ds_read_b64_tr_b16 a[186:187], v8 offset:5376              // 00000000515C: DBC61500 BA000008
	ds_read_b64_tr_b16 a[188:189], v9 offset:5120              // 000000005164: DBC61400 BC000009
	ds_read_b64_tr_b16 a[190:191], v9 offset:5376              // 00000000516C: DBC61500 BE000009
	v_mfma_f32_16x16x32_bf16 v[30:33], a[116:119], a[44:47], v[30:33]// 000000005174: D3B5001E 1C7A5974
	v_mfma_f32_16x16x32_bf16 v[30:33], a[120:123], a[48:51], v[30:33]// 00000000517C: D3B5001E 1C7A6178
	ds_read_b64_tr_b16 a[192:193], v8 offset:6144              // 000000005184: DBC61800 C0000008
	ds_read_b64_tr_b16 a[194:195], v8 offset:6400              // 00000000518C: DBC61900 C2000008
	ds_read_b64_tr_b16 a[196:197], v9 offset:6144              // 000000005194: DBC61800 C4000009
	ds_read_b64_tr_b16 a[198:199], v9 offset:6400              // 00000000519C: DBC61900 C6000009
	v_mfma_f32_16x16x32_bf16 v[30:33], a[124:127], a[52:55], v[30:33]// 0000000051A4: D3B5001E 1C7A697C
	v_mfma_f32_16x16x32_bf16 v[30:33], a[128:131], a[56:59], v[30:33]// 0000000051AC: D3B5001E 1C7A7180
	ds_read_b64_tr_b16 a[200:201], v8 offset:7168              // 0000000051B4: DBC61C00 C8000008
	ds_read_b64_tr_b16 a[202:203], v8 offset:7424              // 0000000051BC: DBC61D00 CA000008
	ds_read_b64_tr_b16 a[204:205], v9 offset:7168              // 0000000051C4: DBC61C00 CC000009
	ds_read_b64_tr_b16 a[206:207], v9 offset:7424              // 0000000051CC: DBC61D00 CE000009
	v_mfma_f32_16x16x32_bf16 v[30:33], a[132:135], a[60:63], v[30:33]// 0000000051D4: D3B5001E 1C7A7984
	v_mfma_f32_16x16x32_bf16 v[30:33], a[136:139], a[64:67], v[30:33]// 0000000051DC: D3B5001E 1C7A8188
	v_mfma_f32_16x16x32_bf16 v[30:33], a[140:143], a[68:71], v[30:33]// 0000000051E4: D3B5001E 1C7A898C
	s_cmp_le_i32 s83, s82                                      // 0000000051EC: BF055253
	s_cbranch_scc1 label_2FE8                                  // 0000000051F0: BF85003D
	v_mov_b32_e32 v22, s82                                     // 0000000051F4: 7E2C0252
	s_sub_u32 s58, s81, s80                                    // 0000000051F8: 80BA5051
	s_add_u32 s58, s58, s7                                     // 0000000051FC: 803A073A
	v_add_u32_e32 v22, s58, v22                                // 000000005200: 682C2C3A
	s_sub_u32 s56, s83, 31                                     // 000000005204: 80B89F53
	v_lshrrev_b32_e32 v162, 4, v0                              // 000000005208: 21440084
	v_mul_i32_i24_e32 v162, 4, v162                            // 00000000520C: 0D454484
	v_add_u32_e32 v162, s56, v162                              // 000000005210: 69454438
	v_add_u32_e32 v163, 1, v162                                // 000000005214: 69474481
	v_add_u32_e32 v164, 2, v162                                // 000000005218: 69494482
	v_add_u32_e32 v165, 3, v162                                // 00000000521C: 694B4483
	v_mov_b32_e32 v23, 0xff800000                              // 000000005220: 7E2E02FF FF800000
	v_cmp_le_u32_e64 s[36:37], v162, v22                       // 000000005228: D0CB0024 00022DA2
	v_add_u32_e32 v162, 16, v162                               // 000000005230: 69454490
	s_nop 0                                                    // 000000005234: BF800000
	v_cndmask_b32_e64 v26, v23, v26, s[36:37]                  // 000000005238: D100001A 00923517
	v_cmp_le_u32_e64 s[36:37], v163, v22                       // 000000005240: D0CB0024 00022DA3
	v_add_u32_e32 v163, 16, v163                               // 000000005248: 69474690
	s_nop 0                                                    // 00000000524C: BF800000
	v_cndmask_b32_e64 v27, v23, v27, s[36:37]                  // 000000005250: D100001B 00923717
	v_cmp_le_u32_e64 s[36:37], v164, v22                       // 000000005258: D0CB0024 00022DA4
	v_add_u32_e32 v164, 16, v164                               // 000000005260: 69494890
	s_nop 0                                                    // 000000005264: BF800000
	v_cndmask_b32_e64 v28, v23, v28, s[36:37]                  // 000000005268: D100001C 00923917
	v_cmp_le_u32_e64 s[36:37], v165, v22                       // 000000005270: D0CB0024 00022DA5
	v_add_u32_e32 v165, 16, v165                               // 000000005278: 694B4A90
	s_nop 0                                                    // 00000000527C: BF800000
	v_cndmask_b32_e64 v29, v23, v29, s[36:37]                  // 000000005280: D100001D 00923B17
	v_cmp_le_u32_e64 s[36:37], v162, v22                       // 000000005288: D0CB0024 00022DA2
	v_add_u32_e32 v162, 16, v162                               // 000000005290: 69454490
	s_nop 0                                                    // 000000005294: BF800000
	v_cndmask_b32_e64 v30, v23, v30, s[36:37]                  // 000000005298: D100001E 00923D17
	v_cmp_le_u32_e64 s[36:37], v163, v22                       // 0000000052A0: D0CB0024 00022DA3
	v_add_u32_e32 v163, 16, v163                               // 0000000052A8: 69474690
	s_nop 0                                                    // 0000000052AC: BF800000
	v_cndmask_b32_e64 v31, v23, v31, s[36:37]                  // 0000000052B0: D100001F 00923F17
	v_cmp_le_u32_e64 s[36:37], v164, v22                       // 0000000052B8: D0CB0024 00022DA4
	v_add_u32_e32 v164, 16, v164                               // 0000000052C0: 69494890
	s_nop 0                                                    // 0000000052C4: BF800000
	v_cndmask_b32_e64 v32, v23, v32, s[36:37]                  // 0000000052C8: D1000020 00924117
	v_cmp_le_u32_e64 s[36:37], v165, v22                       // 0000000052D0: D0CB0024 00022DA5
	v_add_u32_e32 v165, 16, v165                               // 0000000052D8: 694B4A90
	s_nop 0                                                    // 0000000052DC: BF800000
	v_cndmask_b32_e64 v33, v23, v33, s[36:37]                  // 0000000052E0: D1000021 00924317

00000000000052e8 <label_2FE8>:
	s_add_u32 s83, s84, s83                                    // 0000000052E8: 80535354
	s_nop 2                                                    // 0000000052EC: BF800002
	v_mov_b32_e32 v23, v26                                     // 0000000052F0: 7E2E031A
	v_max3_f32 v23, v26, v27, v23                              // 0000000052F4: D1D30017 045E371A
	v_max3_f32 v23, v28, v29, v23                              // 0000000052FC: D1D30017 045E3B1C
	v_max3_f32 v23, v30, v31, v23                              // 000000005304: D1D30017 045E3F1E
	v_max3_f32 v23, v32, v33, v23                              // 00000000530C: D1D30017 045E4320
	v_mov_b32_e32 v22, v23                                     // 000000005314: 7E2C0317
	v_mov_b32_e32 v23, v23                                     // 000000005318: 7E2E0317
	s_nop 1                                                    // 00000000531C: BF800001
	v_permlane16_swap_b32_e32 v22, v23                         // 000000005320: 7E2CB317
	v_mov_b32_e32 v25, v22                                     // 000000005324: 7E320316
	v_mov_b32_e32 v24, v23                                     // 000000005328: 7E300317
	s_nop 1                                                    // 00000000532C: BF800001
	v_permlane32_swap_b32_e32 v22, v23                         // 000000005330: 7E2CB517
	v_permlane32_swap_b32_e32 v24, v25                         // 000000005334: 7E30B519
	v_max3_f32 v23, v22, v23, v23                              // 000000005338: D1D30017 045E2F16
	v_max3_f32 v23, v24, v25, v23                              // 000000005340: D1D30017 045E3318
	v_mov_b32_e32 v22, 0xff800000                              // 000000005348: 7E2C02FF FF800000
	v_cmp_eq_u32_e64 s[36:37], v22, v2                         // 000000005350: D0CA0024 00020516
	v_max_f32_e32 v23, v23, v2                                 // 000000005358: 162E0517
	v_sub_f32_e32 v12, v2, v23                                 // 00000000535C: 04182F02
	v_cndmask_b32_e64 v12, v12, 0, s[36:37]                    // 000000005360: D100000C 0091010C
	v_mov_b32_e32 v2, v23                                      // 000000005368: 7E040317
	v_mul_f32_e32 v23, s5, v23                                 // 00000000536C: 0A2E2E05
	v_mul_f32_e32 v12, s5, v12                                 // 000000005370: 0A181805
	v_exp_f32_e32 v12, v12                                     // 000000005374: 7E18410C
	v_fma_f32 v26, v26, s5, -v23                               // 000000005378: D1CB001A 845C0B1A
	v_fma_f32 v27, v27, s5, -v23                               // 000000005380: D1CB001B 845C0B1B
	v_fma_f32 v28, v28, s5, -v23                               // 000000005388: D1CB001C 845C0B1C
	v_fma_f32 v29, v29, s5, -v23                               // 000000005390: D1CB001D 845C0B1D
	v_fma_f32 v30, v30, s5, -v23                               // 000000005398: D1CB001E 845C0B1E
	v_fma_f32 v31, v31, s5, -v23                               // 0000000053A0: D1CB001F 845C0B1F
	v_fma_f32 v32, v32, s5, -v23                               // 0000000053A8: D1CB0020 845C0B20
	v_fma_f32 v33, v33, s5, -v23                               // 0000000053B0: D1CB0021 845C0B21
	v_exp_f32_e32 v26, v26                                     // 0000000053B8: 7E34411A
	v_exp_f32_e32 v27, v27                                     // 0000000053BC: 7E36411B
	v_exp_f32_e32 v28, v28                                     // 0000000053C0: 7E38411C
	v_exp_f32_e32 v29, v29                                     // 0000000053C4: 7E3A411D
	v_exp_f32_e32 v30, v30                                     // 0000000053C8: 7E3C411E
	v_exp_f32_e32 v31, v31                                     // 0000000053CC: 7E3E411F
	v_exp_f32_e32 v32, v32                                     // 0000000053D0: 7E404120
	v_exp_f32_e32 v33, v33                                     // 0000000053D4: 7E424121
	v_mul_f32_e32 v4, v12, v4                                  // 0000000053D8: 0A08090C
	v_mov_b32_e32 v22, v26                                     // 0000000053DC: 7E2C031A
	v_add_f32_e32 v22, v27, v22                                // 0000000053E0: 022C2D1B
	v_add_f32_e32 v22, v28, v22                                // 0000000053E4: 022C2D1C
	v_add_f32_e32 v22, v29, v22                                // 0000000053E8: 022C2D1D
	v_add_f32_e32 v22, v30, v22                                // 0000000053EC: 022C2D1E
	v_add_f32_e32 v22, v31, v22                                // 0000000053F0: 022C2D1F
	v_add_f32_e32 v22, v32, v22                                // 0000000053F4: 022C2D20
	v_add_f32_e32 v22, v33, v22                                // 0000000053F8: 022C2D21
	v_add_f32_e32 v4, v22, v4                                  // 0000000053FC: 02080916
	v_cvt_pk_bf16_f32 v26, v26, v27                            // 000000005400: D268001A 0002371A
	v_cvt_pk_bf16_f32 v27, v28, v29                            // 000000005408: D268001B 00023B1C
	v_cvt_pk_bf16_f32 v28, v30, v31                            // 000000005410: D268001C 00023F1E
	v_cvt_pk_bf16_f32 v29, v32, v33                            // 000000005418: D268001D 00024320
	s_nop 0                                                    // 000000005420: BF800000
	v_permlane32_swap_b32_e32 v26, v28                         // 000000005424: 7E34B51C
	v_permlane32_swap_b32_e32 v27, v29                         // 000000005428: 7E36B51D
	s_nop 0                                                    // 00000000542C: BF800000
	v_permlane16_swap_b32_e32 v26, v28                         // 000000005430: 7E34B31C
	v_permlane16_swap_b32_e32 v27, v29                         // 000000005434: 7E36B31D
	v_mul_f32_e32 v34, v12, v34                                // 000000005438: 0A44450C
	v_mul_f32_e32 v35, v12, v35                                // 00000000543C: 0A46470C
	v_mul_f32_e32 v36, v12, v36                                // 000000005440: 0A48490C
	v_mul_f32_e32 v37, v12, v37                                // 000000005444: 0A4A4B0C
	v_mul_f32_e32 v38, v12, v38                                // 000000005448: 0A4C4D0C
	v_mul_f32_e32 v39, v12, v39                                // 00000000544C: 0A4E4F0C
	v_mul_f32_e32 v40, v12, v40                                // 000000005450: 0A50510C
	v_mul_f32_e32 v41, v12, v41                                // 000000005454: 0A52530C
	v_mul_f32_e32 v42, v12, v42                                // 000000005458: 0A54550C
	v_mul_f32_e32 v43, v12, v43                                // 00000000545C: 0A56570C
	v_mul_f32_e32 v44, v12, v44                                // 000000005460: 0A58590C
	v_mul_f32_e32 v45, v12, v45                                // 000000005464: 0A5A5B0C
	v_mul_f32_e32 v46, v12, v46                                // 000000005468: 0A5C5D0C
	v_mul_f32_e32 v47, v12, v47                                // 00000000546C: 0A5E5F0C
	v_mul_f32_e32 v48, v12, v48                                // 000000005470: 0A60610C
	v_mul_f32_e32 v49, v12, v49                                // 000000005474: 0A62630C
	v_mul_f32_e32 v50, v12, v50                                // 000000005478: 0A64650C
	v_mul_f32_e32 v51, v12, v51                                // 00000000547C: 0A66670C
	v_mul_f32_e32 v52, v12, v52                                // 000000005480: 0A68690C
	v_mul_f32_e32 v53, v12, v53                                // 000000005484: 0A6A6B0C
	v_mul_f32_e32 v54, v12, v54                                // 000000005488: 0A6C6D0C
	v_mul_f32_e32 v55, v12, v55                                // 00000000548C: 0A6E6F0C
	v_mul_f32_e32 v56, v12, v56                                // 000000005490: 0A70710C
	v_mul_f32_e32 v57, v12, v57                                // 000000005494: 0A72730C
	v_mul_f32_e32 v58, v12, v58                                // 000000005498: 0A74750C
	v_mul_f32_e32 v59, v12, v59                                // 00000000549C: 0A76770C
	v_mul_f32_e32 v60, v12, v60                                // 0000000054A0: 0A78790C
	v_mul_f32_e32 v61, v12, v61                                // 0000000054A4: 0A7A7B0C
	v_mul_f32_e32 v62, v12, v62                                // 0000000054A8: 0A7C7D0C
	v_mul_f32_e32 v63, v12, v63                                // 0000000054AC: 0A7E7F0C
	v_mul_f32_e32 v64, v12, v64                                // 0000000054B0: 0A80810C
	v_mul_f32_e32 v65, v12, v65                                // 0000000054B4: 0A82830C
	v_mul_f32_e32 v66, v12, v66                                // 0000000054B8: 0A84850C
	v_mul_f32_e32 v67, v12, v67                                // 0000000054BC: 0A86870C
	v_mul_f32_e32 v68, v12, v68                                // 0000000054C0: 0A88890C
	v_mul_f32_e32 v69, v12, v69                                // 0000000054C4: 0A8A8B0C
	v_mul_f32_e32 v70, v12, v70                                // 0000000054C8: 0A8C8D0C
	v_mul_f32_e32 v71, v12, v71                                // 0000000054CC: 0A8E8F0C
	v_mul_f32_e32 v72, v12, v72                                // 0000000054D0: 0A90910C
	v_mul_f32_e32 v73, v12, v73                                // 0000000054D4: 0A92930C
	v_mul_f32_e32 v74, v12, v74                                // 0000000054D8: 0A94950C
	v_mul_f32_e32 v75, v12, v75                                // 0000000054DC: 0A96970C
	v_mul_f32_e32 v76, v12, v76                                // 0000000054E0: 0A98990C
	v_mul_f32_e32 v77, v12, v77                                // 0000000054E4: 0A9A9B0C
	v_mul_f32_e32 v78, v12, v78                                // 0000000054E8: 0A9C9D0C
	v_mul_f32_e32 v79, v12, v79                                // 0000000054EC: 0A9E9F0C
	v_mul_f32_e32 v80, v12, v80                                // 0000000054F0: 0AA0A10C
	v_mul_f32_e32 v81, v12, v81                                // 0000000054F4: 0AA2A30C
	v_mul_f32_e32 v82, v12, v82                                // 0000000054F8: 0AA4A50C
	v_mul_f32_e32 v83, v12, v83                                // 0000000054FC: 0AA6A70C
	v_mul_f32_e32 v84, v12, v84                                // 000000005500: 0AA8A90C
	v_mul_f32_e32 v85, v12, v85                                // 000000005504: 0AAAAB0C
	v_mul_f32_e32 v86, v12, v86                                // 000000005508: 0AACAD0C
	v_mul_f32_e32 v87, v12, v87                                // 00000000550C: 0AAEAF0C
	v_mul_f32_e32 v88, v12, v88                                // 000000005510: 0AB0B10C
	v_mul_f32_e32 v89, v12, v89                                // 000000005514: 0AB2B30C
	v_mul_f32_e32 v90, v12, v90                                // 000000005518: 0AB4B50C
	v_mul_f32_e32 v91, v12, v91                                // 00000000551C: 0AB6B70C
	v_mul_f32_e32 v92, v12, v92                                // 000000005520: 0AB8B90C
	v_mul_f32_e32 v93, v12, v93                                // 000000005524: 0ABABB0C
	v_mul_f32_e32 v94, v12, v94                                // 000000005528: 0ABCBD0C
	v_mul_f32_e32 v95, v12, v95                                // 00000000552C: 0ABEBF0C
	v_mul_f32_e32 v96, v12, v96                                // 000000005530: 0AC0C10C
	v_mul_f32_e32 v97, v12, v97                                // 000000005534: 0AC2C30C
	v_mul_f32_e32 v98, v12, v98                                // 000000005538: 0AC4C50C
	v_mul_f32_e32 v99, v12, v99                                // 00000000553C: 0AC6C70C
	v_mul_f32_e32 v100, v12, v100                              // 000000005540: 0AC8C90C
	v_mul_f32_e32 v101, v12, v101                              // 000000005544: 0ACACB0C
	v_mul_f32_e32 v102, v12, v102                              // 000000005548: 0ACCCD0C
	v_mul_f32_e32 v103, v12, v103                              // 00000000554C: 0ACECF0C
	v_mul_f32_e32 v104, v12, v104                              // 000000005550: 0AD0D10C
	v_mul_f32_e32 v105, v12, v105                              // 000000005554: 0AD2D30C
	v_mul_f32_e32 v106, v12, v106                              // 000000005558: 0AD4D50C
	v_mul_f32_e32 v107, v12, v107                              // 00000000555C: 0AD6D70C
	v_mul_f32_e32 v108, v12, v108                              // 000000005560: 0AD8D90C
	v_mul_f32_e32 v109, v12, v109                              // 000000005564: 0ADADB0C
	v_mul_f32_e32 v110, v12, v110                              // 000000005568: 0ADCDD0C
	v_mul_f32_e32 v111, v12, v111                              // 00000000556C: 0ADEDF0C
	v_mul_f32_e32 v112, v12, v112                              // 000000005570: 0AE0E10C
	v_mul_f32_e32 v113, v12, v113                              // 000000005574: 0AE2E30C
	v_mul_f32_e32 v114, v12, v114                              // 000000005578: 0AE4E50C
	v_mul_f32_e32 v115, v12, v115                              // 00000000557C: 0AE6E70C
	v_mul_f32_e32 v116, v12, v116                              // 000000005580: 0AE8E90C
	v_mul_f32_e32 v117, v12, v117                              // 000000005584: 0AEAEB0C
	v_mul_f32_e32 v118, v12, v118                              // 000000005588: 0AECED0C
	v_mul_f32_e32 v119, v12, v119                              // 00000000558C: 0AEEEF0C
	v_mul_f32_e32 v120, v12, v120                              // 000000005590: 0AF0F10C
	v_mul_f32_e32 v121, v12, v121                              // 000000005594: 0AF2F30C
	v_mul_f32_e32 v122, v12, v122                              // 000000005598: 0AF4F50C
	v_mul_f32_e32 v123, v12, v123                              // 00000000559C: 0AF6F70C
	v_mul_f32_e32 v124, v12, v124                              // 0000000055A0: 0AF8F90C
	v_mul_f32_e32 v125, v12, v125                              // 0000000055A4: 0AFAFB0C
	v_mul_f32_e32 v126, v12, v126                              // 0000000055A8: 0AFCFD0C
	v_mul_f32_e32 v127, v12, v127                              // 0000000055AC: 0AFEFF0C
	v_mul_f32_e32 v128, v12, v128                              // 0000000055B0: 0B01010C
	v_mul_f32_e32 v129, v12, v129                              // 0000000055B4: 0B03030C
	v_mul_f32_e32 v130, v12, v130                              // 0000000055B8: 0B05050C
	v_mul_f32_e32 v131, v12, v131                              // 0000000055BC: 0B07070C
	v_mul_f32_e32 v132, v12, v132                              // 0000000055C0: 0B09090C
	v_mul_f32_e32 v133, v12, v133                              // 0000000055C4: 0B0B0B0C
	v_mul_f32_e32 v134, v12, v134                              // 0000000055C8: 0B0D0D0C
	v_mul_f32_e32 v135, v12, v135                              // 0000000055CC: 0B0F0F0C
	v_mul_f32_e32 v136, v12, v136                              // 0000000055D0: 0B11110C
	v_mul_f32_e32 v137, v12, v137                              // 0000000055D4: 0B13130C
	v_mul_f32_e32 v138, v12, v138                              // 0000000055D8: 0B15150C
	v_mul_f32_e32 v139, v12, v139                              // 0000000055DC: 0B17170C
	v_mul_f32_e32 v140, v12, v140                              // 0000000055E0: 0B19190C
	v_mul_f32_e32 v141, v12, v141                              // 0000000055E4: 0B1B1B0C
	v_mul_f32_e32 v142, v12, v142                              // 0000000055E8: 0B1D1D0C
	v_mul_f32_e32 v143, v12, v143                              // 0000000055EC: 0B1F1F0C
	v_mul_f32_e32 v144, v12, v144                              // 0000000055F0: 0B21210C
	v_mul_f32_e32 v145, v12, v145                              // 0000000055F4: 0B23230C
	v_mul_f32_e32 v146, v12, v146                              // 0000000055F8: 0B25250C
	v_mul_f32_e32 v147, v12, v147                              // 0000000055FC: 0B27270C
	v_mul_f32_e32 v148, v12, v148                              // 000000005600: 0B29290C
	v_mul_f32_e32 v149, v12, v149                              // 000000005604: 0B2B2B0C
	v_mul_f32_e32 v150, v12, v150                              // 000000005608: 0B2D2D0C
	v_mul_f32_e32 v151, v12, v151                              // 00000000560C: 0B2F2F0C
	v_mul_f32_e32 v152, v12, v152                              // 000000005610: 0B31310C
	v_mul_f32_e32 v153, v12, v153                              // 000000005614: 0B33330C
	v_mul_f32_e32 v154, v12, v154                              // 000000005618: 0B35350C
	v_mul_f32_e32 v155, v12, v155                              // 00000000561C: 0B37370C
	v_mul_f32_e32 v156, v12, v156                              // 000000005620: 0B39390C
	v_mul_f32_e32 v157, v12, v157                              // 000000005624: 0B3B3B0C
	v_mul_f32_e32 v158, v12, v158                              // 000000005628: 0B3D3D0C
	v_mul_f32_e32 v159, v12, v159                              // 00000000562C: 0B3F3F0C
	v_mul_f32_e32 v160, v12, v160                              // 000000005630: 0B41410C
	v_mul_f32_e32 v161, v12, v161                              // 000000005634: 0B43430C
	s_waitcnt lgkmcnt(0)                                       // 000000005638: BF8CC07F
	v_mfma_f32_16x16x32_bf16 v[34:37], a[144:147], v[26:29], v[34:37]// 00000000563C: D3B50022 0C8A3590
	v_mfma_f32_16x16x32_bf16 v[38:41], a[148:151], v[26:29], v[38:41]// 000000005644: D3B50026 0C9A3594
	v_mfma_f32_16x16x32_bf16 v[42:45], a[152:155], v[26:29], v[42:45]// 00000000564C: D3B5002A 0CAA3598
	v_mfma_f32_16x16x32_bf16 v[46:49], a[156:159], v[26:29], v[46:49]// 000000005654: D3B5002E 0CBA359C
	v_mfma_f32_16x16x32_bf16 v[50:53], a[160:163], v[26:29], v[50:53]// 00000000565C: D3B50032 0CCA35A0
	v_mfma_f32_16x16x32_bf16 v[54:57], a[164:167], v[26:29], v[54:57]// 000000005664: D3B50036 0CDA35A4
	v_mfma_f32_16x16x32_bf16 v[58:61], a[168:171], v[26:29], v[58:61]// 00000000566C: D3B5003A 0CEA35A8
	v_mfma_f32_16x16x32_bf16 v[62:65], a[172:175], v[26:29], v[62:65]// 000000005674: D3B5003E 0CFA35AC
	v_mfma_f32_16x16x32_bf16 v[66:69], a[176:179], v[26:29], v[66:69]// 00000000567C: D3B50042 0D0A35B0
	v_mfma_f32_16x16x32_bf16 v[70:73], a[180:183], v[26:29], v[70:73]// 000000005684: D3B50046 0D1A35B4
	v_mfma_f32_16x16x32_bf16 v[74:77], a[184:187], v[26:29], v[74:77]// 00000000568C: D3B5004A 0D2A35B8
	ds_read_b64_tr_b16 a[144:145], v8 offset:8192              // 000000005694: DBC62000 90000008
	ds_read_b64_tr_b16 a[146:147], v8 offset:8448              // 00000000569C: DBC62100 92000008
	ds_read_b64_tr_b16 a[148:149], v9 offset:8192              // 0000000056A4: DBC62000 94000009
	ds_read_b64_tr_b16 a[150:151], v9 offset:8448              // 0000000056AC: DBC62100 96000009
	v_mfma_f32_16x16x32_bf16 v[78:81], a[188:191], v[26:29], v[78:81]// 0000000056B4: D3B5004E 0D3A35BC
	ds_read_b64_tr_b16 a[152:153], v8 offset:9216              // 0000000056BC: DBC62400 98000008
	ds_read_b64_tr_b16 a[154:155], v8 offset:9472              // 0000000056C4: DBC62500 9A000008
	ds_read_b64_tr_b16 a[156:157], v9 offset:9216              // 0000000056CC: DBC62400 9C000009
	ds_read_b64_tr_b16 a[158:159], v9 offset:9472              // 0000000056D4: DBC62500 9E000009
	v_mfma_f32_16x16x32_bf16 v[82:85], a[192:195], v[26:29], v[82:85]// 0000000056DC: D3B50052 0D4A35C0
	ds_read_b64_tr_b16 a[160:161], v8 offset:10240             // 0000000056E4: DBC62800 A0000008
	ds_read_b64_tr_b16 a[162:163], v8 offset:10496             // 0000000056EC: DBC62900 A2000008
	ds_read_b64_tr_b16 a[164:165], v9 offset:10240             // 0000000056F4: DBC62800 A4000009
	ds_read_b64_tr_b16 a[166:167], v9 offset:10496             // 0000000056FC: DBC62900 A6000009
	v_mfma_f32_16x16x32_bf16 v[86:89], a[196:199], v[26:29], v[86:89]// 000000005704: D3B50056 0D5A35C4
	ds_read_b64_tr_b16 a[168:169], v8 offset:11264             // 00000000570C: DBC62C00 A8000008
	ds_read_b64_tr_b16 a[170:171], v8 offset:11520             // 000000005714: DBC62D00 AA000008
	ds_read_b64_tr_b16 a[172:173], v9 offset:11264             // 00000000571C: DBC62C00 AC000009
	ds_read_b64_tr_b16 a[174:175], v9 offset:11520             // 000000005724: DBC62D00 AE000009
	v_mfma_f32_16x16x32_bf16 v[90:93], a[200:203], v[26:29], v[90:93]// 00000000572C: D3B5005A 0D6A35C8
	ds_read_b64_tr_b16 a[176:177], v8 offset:12288             // 000000005734: DBC63000 B0000008
	ds_read_b64_tr_b16 a[178:179], v8 offset:12544             // 00000000573C: DBC63100 B2000008
	ds_read_b64_tr_b16 a[180:181], v9 offset:12288             // 000000005744: DBC63000 B4000009
	ds_read_b64_tr_b16 a[182:183], v9 offset:12544             // 00000000574C: DBC63100 B6000009
	v_mfma_f32_16x16x32_bf16 v[94:97], a[204:207], v[26:29], v[94:97]// 000000005754: D3B5005E 0D7A35CC
	ds_read_b64_tr_b16 a[184:185], v8 offset:13312             // 00000000575C: DBC63400 B8000008
	ds_read_b64_tr_b16 a[186:187], v8 offset:13568             // 000000005764: DBC63500 BA000008
	ds_read_b64_tr_b16 a[188:189], v9 offset:13312             // 00000000576C: DBC63400 BC000009
	ds_read_b64_tr_b16 a[190:191], v9 offset:13568             // 000000005774: DBC63500 BE000009
	ds_read_b64_tr_b16 a[192:193], v8 offset:14336             // 00000000577C: DBC63800 C0000008
	ds_read_b64_tr_b16 a[194:195], v8 offset:14592             // 000000005784: DBC63900 C2000008
	ds_read_b64_tr_b16 a[196:197], v9 offset:14336             // 00000000578C: DBC63800 C4000009
	ds_read_b64_tr_b16 a[198:199], v9 offset:14592             // 000000005794: DBC63900 C6000009
	ds_read_b64_tr_b16 a[200:201], v8 offset:15360             // 00000000579C: DBC63C00 C8000008
	ds_read_b64_tr_b16 a[202:203], v8 offset:15616             // 0000000057A4: DBC63D00 CA000008
	ds_read_b64_tr_b16 a[204:205], v9 offset:15360             // 0000000057AC: DBC63C00 CC000009
	ds_read_b64_tr_b16 a[206:207], v9 offset:15616             // 0000000057B4: DBC63D00 CE000009
	s_waitcnt lgkmcnt(0)                                       // 0000000057BC: BF8CC07F
	v_mfma_f32_16x16x32_bf16 v[98:101], a[144:147], v[26:29], v[98:101]// 0000000057C0: D3B50062 0D8A3590
	v_mfma_f32_16x16x32_bf16 v[102:105], a[148:151], v[26:29], v[102:105]// 0000000057C8: D3B50066 0D9A3594
	v_mfma_f32_16x16x32_bf16 v[106:109], a[152:155], v[26:29], v[106:109]// 0000000057D0: D3B5006A 0DAA3598
	v_mfma_f32_16x16x32_bf16 v[110:113], a[156:159], v[26:29], v[110:113]// 0000000057D8: D3B5006E 0DBA359C
	v_mfma_f32_16x16x32_bf16 v[114:117], a[160:163], v[26:29], v[114:117]// 0000000057E0: D3B50072 0DCA35A0
	s_waitcnt vmcnt(10)                                        // 0000000057E8: BF8C0F7A
	s_barrier                                                  // 0000000057EC: BF8A0000
	ds_read_b128 a[72:75], v16                                 // 0000000057F0: DBFE0000 48000010
	v_mfma_f32_16x16x32_bf16 v[118:121], a[164:167], v[26:29], v[118:121]// 0000000057F8: D3B50076 0DDA35A4
	ds_read_b128 a[76:79], v16 offset:1024                     // 000000005800: DBFE0400 4C000010
	v_mfma_f32_16x16x32_bf16 v[122:125], a[168:171], v[26:29], v[122:125]// 000000005808: D3B5007A 0DEA35A8
	ds_read_b128 a[80:83], v16 offset:2048                     // 000000005810: DBFE0800 50000010
	v_mfma_f32_16x16x32_bf16 v[126:129], a[172:175], v[26:29], v[126:129]// 000000005818: D3B5007E 0DFA35AC
	ds_read_b128 a[84:87], v16 offset:3072                     // 000000005820: DBFE0C00 54000010
	v_mfma_f32_16x16x32_bf16 v[130:133], a[176:179], v[26:29], v[130:133]// 000000005828: D3B50082 0E0A35B0
	ds_read_b128 a[88:91], v16 offset:4096                     // 000000005830: DBFE1000 58000010
	v_mfma_f32_16x16x32_bf16 v[134:137], a[180:183], v[26:29], v[134:137]// 000000005838: D3B50086 0E1A35B4
	ds_read_b128 a[92:95], v16 offset:5120                     // 000000005840: DBFE1400 5C000010
	v_mfma_f32_16x16x32_bf16 v[138:141], a[184:187], v[26:29], v[138:141]// 000000005848: D3B5008A 0E2A35B8
	ds_read_b128 a[96:99], v16 offset:6144                     // 000000005850: DBFE1800 60000010
	v_mfma_f32_16x16x32_bf16 v[142:145], a[188:191], v[26:29], v[142:145]// 000000005858: D3B5008E 0E3A35BC
	ds_read_b128 a[100:103], v16 offset:7168                   // 000000005860: DBFE1C00 64000010
	v_mfma_f32_16x16x32_bf16 v[146:149], a[192:195], v[26:29], v[146:149]// 000000005868: D3B50092 0E4A35C0
	ds_read_b128 a[104:107], v16 offset:8192                   // 000000005870: DBFE2000 68000010
	v_mfma_f32_16x16x32_bf16 v[150:153], a[196:199], v[26:29], v[150:153]// 000000005878: D3B50096 0E5A35C4
	ds_read_b128 a[108:111], v16 offset:9216                   // 000000005880: DBFE2400 6C000010
	v_mfma_f32_16x16x32_bf16 v[154:157], a[200:203], v[26:29], v[154:157]// 000000005888: D3B5009A 0E6A35C8
	ds_read_b128 a[112:115], v16 offset:10240                  // 000000005890: DBFE2800 70000010
	v_mfma_f32_16x16x32_bf16 v[158:161], a[204:207], v[26:29], v[158:161]// 000000005898: D3B5009E 0E7A35CC
	ds_read_b128 a[116:119], v16 offset:11264                  // 0000000058A0: DBFE2C00 74000010
	ds_read_b128 a[120:123], v16 offset:12288                  // 0000000058A8: DBFE3000 78000010
	ds_read_b128 a[124:127], v16 offset:13312                  // 0000000058B0: DBFE3400 7C000010
	ds_read_b128 a[128:131], v16 offset:14336                  // 0000000058B8: DBFE3800 80000010
	ds_read_b128 a[132:135], v16 offset:15360                  // 0000000058C0: DBFE3C00 84000010
	ds_read_b128 a[136:139], v16 offset:16384                  // 0000000058C8: DBFE4000 88000010
	ds_read_b128 a[140:143], v16 offset:17408                  // 0000000058D0: DBFE4400 8C000010
	s_addk_i32 s70, 0x1                                        // 0000000058D8: B7460001
	s_cmp_lt_i32 s70, s71                                      // 0000000058DC: BF044746
	s_cbranch_scc0 label_2B6C                                  // 0000000058E0: BF84FD62
	s_waitcnt lgkmcnt(4)                                       // 0000000058E4: BF8CC47F
	v_mfma_f32_16x16x32_bf16 v[26:29], a[72:75], a[0:3], 0     // 0000000058E8: D3B5001A 1A020148
	v_mul_u32_u24_e64 v25, v17, s68                            // 0000000058F0: D1080019 00008911
	v_add_u32_e32 v25, v25, v1                                 // 0000000058F8: 68320319
	buffer_load_dword v19, v21, s[24:27], 0 offen              // 0000000058FC: E0501000 80061315
	ds_read_b128 a[72:75], v16 offset:18432                    // 000000005904: DBFE4800 48000010
	v_mfma_f32_16x16x32_bf16 v[26:29], a[76:79], a[4:7], v[26:29]// 00000000590C: D3B5001A 1C6A094C
	s_mov_b32 s56, 0x14000                                     // 000000005914: BEB800FF 00014000
	s_mul_i32 s57, s7, 0x2400                                  // 00000000591C: 9239FF07 00002400
	s_add_u32 m0, s56, s57                                     // 000000005924: 807C3938
	buffer_load_dwordx4 v25, s[20:23], 0 offen lds             // 000000005928: E05D1000 80050019
	s_add_i32 m0, m0, 0x3c0                                    // 000000005930: 817CFF7C 000003C0
	v_mfma_f32_16x16x32_bf16 v[26:29], a[80:83], a[8:11], v[26:29]// 000000005938: D3B5001A 1C6A1150
	ds_read_b128 a[76:79], v16 offset:19456                    // 000000005940: DBFE4C00 4C000010
	v_mfma_f32_16x16x32_bf16 v[26:29], a[84:87], a[12:15], v[26:29]// 000000005948: D3B5001A 1C6A1954
	buffer_load_dwordx4 v25, s[20:23], 0 offen offset:64 lds   // 000000005950: E05D1040 80050019
	s_add_i32 m0, m0, 0x3c0                                    // 000000005958: 817CFF7C 000003C0
	v_mfma_f32_16x16x32_bf16 v[26:29], a[88:91], a[16:19], v[26:29]// 000000005960: D3B5001A 1C6A2158
	ds_read_b128 a[80:83], v16 offset:20480                    // 000000005968: DBFE5000 50000010
	v_mfma_f32_16x16x32_bf16 v[26:29], a[92:95], a[20:23], v[26:29]// 000000005970: D3B5001A 1C6A295C
	buffer_load_dwordx4 v25, s[20:23], 0 offen offset:128 lds  // 000000005978: E05D1080 80050019
	s_add_i32 m0, m0, 0x3c0                                    // 000000005980: 817CFF7C 000003C0
	v_mfma_f32_16x16x32_bf16 v[26:29], a[96:99], a[24:27], v[26:29]// 000000005988: D3B5001A 1C6A3160
	ds_read_b128 a[84:87], v16 offset:21504                    // 000000005990: DBFE5400 54000010
	v_mfma_f32_16x16x32_bf16 v[26:29], a[100:103], a[28:31], v[26:29]// 000000005998: D3B5001A 1C6A3964
	buffer_load_dwordx4 v25, s[20:23], 0 offen offset:192 lds  // 0000000059A0: E05D10C0 80050019
	s_add_i32 m0, m0, 0x3c0                                    // 0000000059A8: 817CFF7C 000003C0
	v_mfma_f32_16x16x32_bf16 v[26:29], a[104:107], a[32:35], v[26:29]// 0000000059B0: D3B5001A 1C6A4168
	ds_read_b128 a[88:91], v16 offset:22528                    // 0000000059B8: DBFE5800 58000010
	v_mfma_f32_16x16x32_bf16 v[26:29], a[108:111], a[36:39], v[26:29]// 0000000059C0: D3B5001A 1C6A496C
	buffer_load_dwordx4 v25, s[20:23], 0 offen offset:256 lds  // 0000000059C8: E05D1100 80050019
	s_add_i32 m0, m0, 0x3c0                                    // 0000000059D0: 817CFF7C 000003C0
	v_mfma_f32_16x16x32_bf16 v[26:29], a[112:115], a[40:43], v[26:29]// 0000000059D8: D3B5001A 1C6A5170
	ds_read_b128 a[92:95], v16 offset:23552                    // 0000000059E0: DBFE5C00 5C000010
	v_mfma_f32_16x16x32_bf16 v[26:29], a[116:119], a[44:47], v[26:29]// 0000000059E8: D3B5001A 1C6A5974
	buffer_load_dwordx4 v25, s[20:23], 0 offen offset:320 lds  // 0000000059F0: E05D1140 80050019
	s_add_i32 m0, m0, 0x3c0                                    // 0000000059F8: 817CFF7C 000003C0
	v_mfma_f32_16x16x32_bf16 v[26:29], a[120:123], a[48:51], v[26:29]// 000000005A00: D3B5001A 1C6A6178
	ds_read_b128 a[96:99], v16 offset:24576                    // 000000005A08: DBFE6000 60000010
	v_mfma_f32_16x16x32_bf16 v[26:29], a[124:127], a[52:55], v[26:29]// 000000005A10: D3B5001A 1C6A697C
	buffer_load_dwordx4 v25, s[20:23], 0 offen offset:384 lds  // 000000005A18: E05D1180 80050019
	s_add_i32 m0, m0, 0x3c0                                    // 000000005A20: 817CFF7C 000003C0
	v_mfma_f32_16x16x32_bf16 v[26:29], a[128:131], a[56:59], v[26:29]// 000000005A28: D3B5001A 1C6A7180
	ds_read_b128 a[100:103], v16 offset:25600                  // 000000005A30: DBFE6400 64000010
	v_mfma_f32_16x16x32_bf16 v[26:29], a[132:135], a[60:63], v[26:29]// 000000005A38: D3B5001A 1C6A7984
	buffer_load_dwordx4 v25, s[20:23], 0 offen offset:448 lds  // 000000005A40: E05D11C0 80050019
	s_add_i32 m0, m0, 0x3c0                                    // 000000005A48: 817CFF7C 000003C0
	v_mfma_f32_16x16x32_bf16 v[26:29], a[136:139], a[64:67], v[26:29]// 000000005A50: D3B5001A 1C6A8188
	ds_read_b128 a[104:107], v16 offset:26624                  // 000000005A58: DBFE6800 68000010
	v_mfma_f32_16x16x32_bf16 v[26:29], a[140:143], a[68:71], v[26:29]// 000000005A60: D3B5001A 1C6A898C
	buffer_load_dwordx4 v25, s[20:23], 0 offen offset:512 lds  // 000000005A68: E05D1200 80050019
	s_add_i32 m0, m0, 0x3c0                                    // 000000005A70: 817CFF7C 000003C0
	ds_read_b128 a[108:111], v16 offset:27648                  // 000000005A78: DBFE6C00 6C000010
	ds_read_b128 a[112:115], v16 offset:28672                  // 000000005A80: DBFE7000 70000010
	ds_read_b128 a[116:119], v16 offset:29696                  // 000000005A88: DBFE7400 74000010
	ds_read_b128 a[120:123], v16 offset:30720                  // 000000005A90: DBFE7800 78000010
	ds_read_b128 a[124:127], v16 offset:31744                  // 000000005A98: DBFE7C00 7C000010
	ds_read_b128 a[128:131], v16 offset:32768                  // 000000005AA0: DBFE8000 80000010
	ds_read_b128 a[132:135], v16 offset:33792                  // 000000005AA8: DBFE8400 84000010
	ds_read_b128 a[136:139], v16 offset:34816                  // 000000005AB0: DBFE8800 88000010
	ds_read_b128 a[140:143], v16 offset:35840                  // 000000005AB8: DBFE8C00 8C000010
	v_add_u32_e32 v21, s73, v21                                // 000000005AC0: 682A2A49
	s_waitcnt lgkmcnt(4)                                       // 000000005AC4: BF8CC47F
	v_mfma_f32_16x16x32_bf16 v[30:33], a[72:75], a[0:3], 0     // 000000005AC8: D3B5001E 1A020148
	ds_read_b64_tr_b16 a[144:145], v10                         // 000000005AD0: DBC60000 9000000A
	ds_read_b64_tr_b16 a[146:147], v10 offset:256              // 000000005AD8: DBC60100 9200000A
	ds_read_b64_tr_b16 a[148:149], v11                         // 000000005AE0: DBC60000 9400000B
	ds_read_b64_tr_b16 a[150:151], v11 offset:256              // 000000005AE8: DBC60100 9600000B
	v_mfma_f32_16x16x32_bf16 v[30:33], a[76:79], a[4:7], v[30:33]// 000000005AF0: D3B5001E 1C7A094C
	v_mfma_f32_16x16x32_bf16 v[30:33], a[80:83], a[8:11], v[30:33]// 000000005AF8: D3B5001E 1C7A1150
	ds_read_b64_tr_b16 a[152:153], v10 offset:1024             // 000000005B00: DBC60400 9800000A
	ds_read_b64_tr_b16 a[154:155], v10 offset:1280             // 000000005B08: DBC60500 9A00000A
	ds_read_b64_tr_b16 a[156:157], v11 offset:1024             // 000000005B10: DBC60400 9C00000B
	ds_read_b64_tr_b16 a[158:159], v11 offset:1280             // 000000005B18: DBC60500 9E00000B
	v_mfma_f32_16x16x32_bf16 v[30:33], a[84:87], a[12:15], v[30:33]// 000000005B20: D3B5001E 1C7A1954
	v_mfma_f32_16x16x32_bf16 v[30:33], a[88:91], a[16:19], v[30:33]// 000000005B28: D3B5001E 1C7A2158
	ds_read_b64_tr_b16 a[160:161], v10 offset:2048             // 000000005B30: DBC60800 A000000A
	ds_read_b64_tr_b16 a[162:163], v10 offset:2304             // 000000005B38: DBC60900 A200000A
	ds_read_b64_tr_b16 a[164:165], v11 offset:2048             // 000000005B40: DBC60800 A400000B
	ds_read_b64_tr_b16 a[166:167], v11 offset:2304             // 000000005B48: DBC60900 A600000B
	v_mfma_f32_16x16x32_bf16 v[30:33], a[92:95], a[20:23], v[30:33]// 000000005B50: D3B5001E 1C7A295C
	v_mfma_f32_16x16x32_bf16 v[30:33], a[96:99], a[24:27], v[30:33]// 000000005B58: D3B5001E 1C7A3160
	ds_read_b64_tr_b16 a[168:169], v10 offset:3072             // 000000005B60: DBC60C00 A800000A
	ds_read_b64_tr_b16 a[170:171], v10 offset:3328             // 000000005B68: DBC60D00 AA00000A
	ds_read_b64_tr_b16 a[172:173], v11 offset:3072             // 000000005B70: DBC60C00 AC00000B
	ds_read_b64_tr_b16 a[174:175], v11 offset:3328             // 000000005B78: DBC60D00 AE00000B
	v_mfma_f32_16x16x32_bf16 v[30:33], a[100:103], a[28:31], v[30:33]// 000000005B80: D3B5001E 1C7A3964
	v_mfma_f32_16x16x32_bf16 v[30:33], a[104:107], a[32:35], v[30:33]// 000000005B88: D3B5001E 1C7A4168
	ds_read_b64_tr_b16 a[176:177], v10 offset:4096             // 000000005B90: DBC61000 B000000A
	ds_read_b64_tr_b16 a[178:179], v10 offset:4352             // 000000005B98: DBC61100 B200000A
	ds_read_b64_tr_b16 a[180:181], v11 offset:4096             // 000000005BA0: DBC61000 B400000B
	ds_read_b64_tr_b16 a[182:183], v11 offset:4352             // 000000005BA8: DBC61100 B600000B
	v_mfma_f32_16x16x32_bf16 v[30:33], a[108:111], a[36:39], v[30:33]// 000000005BB0: D3B5001E 1C7A496C
	v_mfma_f32_16x16x32_bf16 v[30:33], a[112:115], a[40:43], v[30:33]// 000000005BB8: D3B5001E 1C7A5170
	ds_read_b64_tr_b16 a[184:185], v10 offset:5120             // 000000005BC0: DBC61400 B800000A
	ds_read_b64_tr_b16 a[186:187], v10 offset:5376             // 000000005BC8: DBC61500 BA00000A
	ds_read_b64_tr_b16 a[188:189], v11 offset:5120             // 000000005BD0: DBC61400 BC00000B
	ds_read_b64_tr_b16 a[190:191], v11 offset:5376             // 000000005BD8: DBC61500 BE00000B
	v_mfma_f32_16x16x32_bf16 v[30:33], a[116:119], a[44:47], v[30:33]// 000000005BE0: D3B5001E 1C7A5974
	v_mfma_f32_16x16x32_bf16 v[30:33], a[120:123], a[48:51], v[30:33]// 000000005BE8: D3B5001E 1C7A6178
	ds_read_b64_tr_b16 a[192:193], v10 offset:6144             // 000000005BF0: DBC61800 C000000A
	ds_read_b64_tr_b16 a[194:195], v10 offset:6400             // 000000005BF8: DBC61900 C200000A
	ds_read_b64_tr_b16 a[196:197], v11 offset:6144             // 000000005C00: DBC61800 C400000B
	ds_read_b64_tr_b16 a[198:199], v11 offset:6400             // 000000005C08: DBC61900 C600000B
	v_mfma_f32_16x16x32_bf16 v[30:33], a[124:127], a[52:55], v[30:33]// 000000005C10: D3B5001E 1C7A697C
	v_mfma_f32_16x16x32_bf16 v[30:33], a[128:131], a[56:59], v[30:33]// 000000005C18: D3B5001E 1C7A7180
	ds_read_b64_tr_b16 a[200:201], v10 offset:7168             // 000000005C20: DBC61C00 C800000A
	ds_read_b64_tr_b16 a[202:203], v10 offset:7424             // 000000005C28: DBC61D00 CA00000A
	ds_read_b64_tr_b16 a[204:205], v11 offset:7168             // 000000005C30: DBC61C00 CC00000B
	ds_read_b64_tr_b16 a[206:207], v11 offset:7424             // 000000005C38: DBC61D00 CE00000B
	v_mfma_f32_16x16x32_bf16 v[30:33], a[132:135], a[60:63], v[30:33]// 000000005C40: D3B5001E 1C7A7984
	v_mfma_f32_16x16x32_bf16 v[30:33], a[136:139], a[64:67], v[30:33]// 000000005C48: D3B5001E 1C7A8188
	v_mfma_f32_16x16x32_bf16 v[30:33], a[140:143], a[68:71], v[30:33]// 000000005C50: D3B5001E 1C7A898C
	s_cmp_le_i32 s83, s82                                      // 000000005C58: BF055253
	s_cbranch_scc1 label_3A54                                  // 000000005C5C: BF85003D
	v_mov_b32_e32 v22, s82                                     // 000000005C60: 7E2C0252
	s_sub_u32 s58, s81, s80                                    // 000000005C64: 80BA5051
	s_add_u32 s58, s58, s7                                     // 000000005C68: 803A073A
	v_add_u32_e32 v22, s58, v22                                // 000000005C6C: 682C2C3A
	s_sub_u32 s56, s83, 31                                     // 000000005C70: 80B89F53
	v_lshrrev_b32_e32 v162, 4, v0                              // 000000005C74: 21440084
	v_mul_i32_i24_e32 v162, 4, v162                            // 000000005C78: 0D454484
	v_add_u32_e32 v162, s56, v162                              // 000000005C7C: 69454438
	v_add_u32_e32 v163, 1, v162                                // 000000005C80: 69474481
	v_add_u32_e32 v164, 2, v162                                // 000000005C84: 69494482
	v_add_u32_e32 v165, 3, v162                                // 000000005C88: 694B4483
	v_mov_b32_e32 v23, 0xff800000                              // 000000005C8C: 7E2E02FF FF800000
	v_cmp_le_u32_e64 s[36:37], v162, v22                       // 000000005C94: D0CB0024 00022DA2
	v_add_u32_e32 v162, 16, v162                               // 000000005C9C: 69454490
	s_nop 0                                                    // 000000005CA0: BF800000
	v_cndmask_b32_e64 v26, v23, v26, s[36:37]                  // 000000005CA4: D100001A 00923517
	v_cmp_le_u32_e64 s[36:37], v163, v22                       // 000000005CAC: D0CB0024 00022DA3
	v_add_u32_e32 v163, 16, v163                               // 000000005CB4: 69474690
	s_nop 0                                                    // 000000005CB8: BF800000
	v_cndmask_b32_e64 v27, v23, v27, s[36:37]                  // 000000005CBC: D100001B 00923717
	v_cmp_le_u32_e64 s[36:37], v164, v22                       // 000000005CC4: D0CB0024 00022DA4
	v_add_u32_e32 v164, 16, v164                               // 000000005CCC: 69494890
	s_nop 0                                                    // 000000005CD0: BF800000
	v_cndmask_b32_e64 v28, v23, v28, s[36:37]                  // 000000005CD4: D100001C 00923917
	v_cmp_le_u32_e64 s[36:37], v165, v22                       // 000000005CDC: D0CB0024 00022DA5
	v_add_u32_e32 v165, 16, v165                               // 000000005CE4: 694B4A90
	s_nop 0                                                    // 000000005CE8: BF800000
	v_cndmask_b32_e64 v29, v23, v29, s[36:37]                  // 000000005CEC: D100001D 00923B17
	v_cmp_le_u32_e64 s[36:37], v162, v22                       // 000000005CF4: D0CB0024 00022DA2
	v_add_u32_e32 v162, 16, v162                               // 000000005CFC: 69454490
	s_nop 0                                                    // 000000005D00: BF800000
	v_cndmask_b32_e64 v30, v23, v30, s[36:37]                  // 000000005D04: D100001E 00923D17
	v_cmp_le_u32_e64 s[36:37], v163, v22                       // 000000005D0C: D0CB0024 00022DA3
	v_add_u32_e32 v163, 16, v163                               // 000000005D14: 69474690
	s_nop 0                                                    // 000000005D18: BF800000
	v_cndmask_b32_e64 v31, v23, v31, s[36:37]                  // 000000005D1C: D100001F 00923F17
	v_cmp_le_u32_e64 s[36:37], v164, v22                       // 000000005D24: D0CB0024 00022DA4
	v_add_u32_e32 v164, 16, v164                               // 000000005D2C: 69494890
	s_nop 0                                                    // 000000005D30: BF800000
	v_cndmask_b32_e64 v32, v23, v32, s[36:37]                  // 000000005D34: D1000020 00924117
	v_cmp_le_u32_e64 s[36:37], v165, v22                       // 000000005D3C: D0CB0024 00022DA5
	v_add_u32_e32 v165, 16, v165                               // 000000005D44: 694B4A90
	s_nop 0                                                    // 000000005D48: BF800000
	v_cndmask_b32_e64 v33, v23, v33, s[36:37]                  // 000000005D4C: D1000021 00924317

0000000000005d54 <label_3A54>:
	s_add_u32 s83, s84, s83                                    // 000000005D54: 80535354
	s_nop 2                                                    // 000000005D58: BF800002
	v_mov_b32_e32 v23, v26                                     // 000000005D5C: 7E2E031A
	v_max3_f32 v23, v26, v27, v23                              // 000000005D60: D1D30017 045E371A
	v_max3_f32 v23, v28, v29, v23                              // 000000005D68: D1D30017 045E3B1C
	v_max3_f32 v23, v30, v31, v23                              // 000000005D70: D1D30017 045E3F1E
	v_max3_f32 v23, v32, v33, v23                              // 000000005D78: D1D30017 045E4320
	v_mov_b32_e32 v22, v23                                     // 000000005D80: 7E2C0317
	v_mov_b32_e32 v23, v23                                     // 000000005D84: 7E2E0317
	s_nop 1                                                    // 000000005D88: BF800001
	v_permlane16_swap_b32_e32 v22, v23                         // 000000005D8C: 7E2CB317
	v_mov_b32_e32 v25, v22                                     // 000000005D90: 7E320316
	v_mov_b32_e32 v24, v23                                     // 000000005D94: 7E300317
	s_nop 1                                                    // 000000005D98: BF800001
	v_permlane32_swap_b32_e32 v22, v23                         // 000000005D9C: 7E2CB517
	v_permlane32_swap_b32_e32 v24, v25                         // 000000005DA0: 7E30B519
	v_max3_f32 v23, v22, v23, v23                              // 000000005DA4: D1D30017 045E2F16
	v_max3_f32 v23, v24, v25, v23                              // 000000005DAC: D1D30017 045E3318
	v_mov_b32_e32 v22, 0xff800000                              // 000000005DB4: 7E2C02FF FF800000
	v_cmp_eq_u32_e64 s[36:37], v22, v2                         // 000000005DBC: D0CA0024 00020516
	v_max_f32_e32 v23, v23, v2                                 // 000000005DC4: 162E0517
	v_sub_f32_e32 v12, v2, v23                                 // 000000005DC8: 04182F02
	v_cndmask_b32_e64 v12, v12, 0, s[36:37]                    // 000000005DCC: D100000C 0091010C
	v_mov_b32_e32 v2, v23                                      // 000000005DD4: 7E040317
	v_mul_f32_e32 v23, s5, v23                                 // 000000005DD8: 0A2E2E05
	v_mul_f32_e32 v12, s5, v12                                 // 000000005DDC: 0A181805
	v_exp_f32_e32 v12, v12                                     // 000000005DE0: 7E18410C
	v_fma_f32 v26, v26, s5, -v23                               // 000000005DE4: D1CB001A 845C0B1A
	v_fma_f32 v27, v27, s5, -v23                               // 000000005DEC: D1CB001B 845C0B1B
	v_fma_f32 v28, v28, s5, -v23                               // 000000005DF4: D1CB001C 845C0B1C
	v_fma_f32 v29, v29, s5, -v23                               // 000000005DFC: D1CB001D 845C0B1D
	v_fma_f32 v30, v30, s5, -v23                               // 000000005E04: D1CB001E 845C0B1E
	v_fma_f32 v31, v31, s5, -v23                               // 000000005E0C: D1CB001F 845C0B1F
	v_fma_f32 v32, v32, s5, -v23                               // 000000005E14: D1CB0020 845C0B20
	v_fma_f32 v33, v33, s5, -v23                               // 000000005E1C: D1CB0021 845C0B21
	v_exp_f32_e32 v26, v26                                     // 000000005E24: 7E34411A
	v_exp_f32_e32 v27, v27                                     // 000000005E28: 7E36411B
	v_exp_f32_e32 v28, v28                                     // 000000005E2C: 7E38411C
	v_exp_f32_e32 v29, v29                                     // 000000005E30: 7E3A411D
	v_exp_f32_e32 v30, v30                                     // 000000005E34: 7E3C411E
	v_exp_f32_e32 v31, v31                                     // 000000005E38: 7E3E411F
	v_exp_f32_e32 v32, v32                                     // 000000005E3C: 7E404120
	v_exp_f32_e32 v33, v33                                     // 000000005E40: 7E424121
	v_mul_f32_e32 v4, v12, v4                                  // 000000005E44: 0A08090C
	v_mov_b32_e32 v22, v26                                     // 000000005E48: 7E2C031A
	v_add_f32_e32 v22, v27, v22                                // 000000005E4C: 022C2D1B
	v_add_f32_e32 v22, v28, v22                                // 000000005E50: 022C2D1C
	v_add_f32_e32 v22, v29, v22                                // 000000005E54: 022C2D1D
	v_add_f32_e32 v22, v30, v22                                // 000000005E58: 022C2D1E
	v_add_f32_e32 v22, v31, v22                                // 000000005E5C: 022C2D1F
	v_add_f32_e32 v22, v32, v22                                // 000000005E60: 022C2D20
	v_add_f32_e32 v22, v33, v22                                // 000000005E64: 022C2D21
	v_add_f32_e32 v4, v22, v4                                  // 000000005E68: 02080916
	v_cvt_pk_bf16_f32 v26, v26, v27                            // 000000005E6C: D268001A 0002371A
	v_cvt_pk_bf16_f32 v27, v28, v29                            // 000000005E74: D268001B 00023B1C
	v_cvt_pk_bf16_f32 v28, v30, v31                            // 000000005E7C: D268001C 00023F1E
	v_cvt_pk_bf16_f32 v29, v32, v33                            // 000000005E84: D268001D 00024320
	s_nop 0                                                    // 000000005E8C: BF800000
	v_permlane32_swap_b32_e32 v26, v28                         // 000000005E90: 7E34B51C
	v_permlane32_swap_b32_e32 v27, v29                         // 000000005E94: 7E36B51D
	s_nop 0                                                    // 000000005E98: BF800000
	v_permlane16_swap_b32_e32 v26, v28                         // 000000005E9C: 7E34B31C
	v_permlane16_swap_b32_e32 v27, v29                         // 000000005EA0: 7E36B31D
	v_mul_f32_e32 v34, v12, v34                                // 000000005EA4: 0A44450C
	v_mul_f32_e32 v35, v12, v35                                // 000000005EA8: 0A46470C
	v_mul_f32_e32 v36, v12, v36                                // 000000005EAC: 0A48490C
	v_mul_f32_e32 v37, v12, v37                                // 000000005EB0: 0A4A4B0C
	v_mul_f32_e32 v38, v12, v38                                // 000000005EB4: 0A4C4D0C
	v_mul_f32_e32 v39, v12, v39                                // 000000005EB8: 0A4E4F0C
	v_mul_f32_e32 v40, v12, v40                                // 000000005EBC: 0A50510C
	v_mul_f32_e32 v41, v12, v41                                // 000000005EC0: 0A52530C
	v_mul_f32_e32 v42, v12, v42                                // 000000005EC4: 0A54550C
	v_mul_f32_e32 v43, v12, v43                                // 000000005EC8: 0A56570C
	v_mul_f32_e32 v44, v12, v44                                // 000000005ECC: 0A58590C
	v_mul_f32_e32 v45, v12, v45                                // 000000005ED0: 0A5A5B0C
	v_mul_f32_e32 v46, v12, v46                                // 000000005ED4: 0A5C5D0C
	v_mul_f32_e32 v47, v12, v47                                // 000000005ED8: 0A5E5F0C
	v_mul_f32_e32 v48, v12, v48                                // 000000005EDC: 0A60610C
	v_mul_f32_e32 v49, v12, v49                                // 000000005EE0: 0A62630C
	v_mul_f32_e32 v50, v12, v50                                // 000000005EE4: 0A64650C
	v_mul_f32_e32 v51, v12, v51                                // 000000005EE8: 0A66670C
	v_mul_f32_e32 v52, v12, v52                                // 000000005EEC: 0A68690C
	v_mul_f32_e32 v53, v12, v53                                // 000000005EF0: 0A6A6B0C
	v_mul_f32_e32 v54, v12, v54                                // 000000005EF4: 0A6C6D0C
	v_mul_f32_e32 v55, v12, v55                                // 000000005EF8: 0A6E6F0C
	v_mul_f32_e32 v56, v12, v56                                // 000000005EFC: 0A70710C
	v_mul_f32_e32 v57, v12, v57                                // 000000005F00: 0A72730C
	v_mul_f32_e32 v58, v12, v58                                // 000000005F04: 0A74750C
	v_mul_f32_e32 v59, v12, v59                                // 000000005F08: 0A76770C
	v_mul_f32_e32 v60, v12, v60                                // 000000005F0C: 0A78790C
	v_mul_f32_e32 v61, v12, v61                                // 000000005F10: 0A7A7B0C
	v_mul_f32_e32 v62, v12, v62                                // 000000005F14: 0A7C7D0C
	v_mul_f32_e32 v63, v12, v63                                // 000000005F18: 0A7E7F0C
	v_mul_f32_e32 v64, v12, v64                                // 000000005F1C: 0A80810C
	v_mul_f32_e32 v65, v12, v65                                // 000000005F20: 0A82830C
	v_mul_f32_e32 v66, v12, v66                                // 000000005F24: 0A84850C
	v_mul_f32_e32 v67, v12, v67                                // 000000005F28: 0A86870C
	v_mul_f32_e32 v68, v12, v68                                // 000000005F2C: 0A88890C
	v_mul_f32_e32 v69, v12, v69                                // 000000005F30: 0A8A8B0C
	v_mul_f32_e32 v70, v12, v70                                // 000000005F34: 0A8C8D0C
	v_mul_f32_e32 v71, v12, v71                                // 000000005F38: 0A8E8F0C
	v_mul_f32_e32 v72, v12, v72                                // 000000005F3C: 0A90910C
	v_mul_f32_e32 v73, v12, v73                                // 000000005F40: 0A92930C
	v_mul_f32_e32 v74, v12, v74                                // 000000005F44: 0A94950C
	v_mul_f32_e32 v75, v12, v75                                // 000000005F48: 0A96970C
	v_mul_f32_e32 v76, v12, v76                                // 000000005F4C: 0A98990C
	v_mul_f32_e32 v77, v12, v77                                // 000000005F50: 0A9A9B0C
	v_mul_f32_e32 v78, v12, v78                                // 000000005F54: 0A9C9D0C
	v_mul_f32_e32 v79, v12, v79                                // 000000005F58: 0A9E9F0C
	v_mul_f32_e32 v80, v12, v80                                // 000000005F5C: 0AA0A10C
	v_mul_f32_e32 v81, v12, v81                                // 000000005F60: 0AA2A30C
	v_mul_f32_e32 v82, v12, v82                                // 000000005F64: 0AA4A50C
	v_mul_f32_e32 v83, v12, v83                                // 000000005F68: 0AA6A70C
	v_mul_f32_e32 v84, v12, v84                                // 000000005F6C: 0AA8A90C
	v_mul_f32_e32 v85, v12, v85                                // 000000005F70: 0AAAAB0C
	v_mul_f32_e32 v86, v12, v86                                // 000000005F74: 0AACAD0C
	v_mul_f32_e32 v87, v12, v87                                // 000000005F78: 0AAEAF0C
	v_mul_f32_e32 v88, v12, v88                                // 000000005F7C: 0AB0B10C
	v_mul_f32_e32 v89, v12, v89                                // 000000005F80: 0AB2B30C
	v_mul_f32_e32 v90, v12, v90                                // 000000005F84: 0AB4B50C
	v_mul_f32_e32 v91, v12, v91                                // 000000005F88: 0AB6B70C
	v_mul_f32_e32 v92, v12, v92                                // 000000005F8C: 0AB8B90C
	v_mul_f32_e32 v93, v12, v93                                // 000000005F90: 0ABABB0C
	v_mul_f32_e32 v94, v12, v94                                // 000000005F94: 0ABCBD0C
	v_mul_f32_e32 v95, v12, v95                                // 000000005F98: 0ABEBF0C
	v_mul_f32_e32 v96, v12, v96                                // 000000005F9C: 0AC0C10C
	v_mul_f32_e32 v97, v12, v97                                // 000000005FA0: 0AC2C30C
	v_mul_f32_e32 v98, v12, v98                                // 000000005FA4: 0AC4C50C
	v_mul_f32_e32 v99, v12, v99                                // 000000005FA8: 0AC6C70C
	v_mul_f32_e32 v100, v12, v100                              // 000000005FAC: 0AC8C90C
	v_mul_f32_e32 v101, v12, v101                              // 000000005FB0: 0ACACB0C
	v_mul_f32_e32 v102, v12, v102                              // 000000005FB4: 0ACCCD0C
	v_mul_f32_e32 v103, v12, v103                              // 000000005FB8: 0ACECF0C
	v_mul_f32_e32 v104, v12, v104                              // 000000005FBC: 0AD0D10C
	v_mul_f32_e32 v105, v12, v105                              // 000000005FC0: 0AD2D30C
	v_mul_f32_e32 v106, v12, v106                              // 000000005FC4: 0AD4D50C
	v_mul_f32_e32 v107, v12, v107                              // 000000005FC8: 0AD6D70C
	v_mul_f32_e32 v108, v12, v108                              // 000000005FCC: 0AD8D90C
	v_mul_f32_e32 v109, v12, v109                              // 000000005FD0: 0ADADB0C
	v_mul_f32_e32 v110, v12, v110                              // 000000005FD4: 0ADCDD0C
	v_mul_f32_e32 v111, v12, v111                              // 000000005FD8: 0ADEDF0C
	v_mul_f32_e32 v112, v12, v112                              // 000000005FDC: 0AE0E10C
	v_mul_f32_e32 v113, v12, v113                              // 000000005FE0: 0AE2E30C
	v_mul_f32_e32 v114, v12, v114                              // 000000005FE4: 0AE4E50C
	v_mul_f32_e32 v115, v12, v115                              // 000000005FE8: 0AE6E70C
	v_mul_f32_e32 v116, v12, v116                              // 000000005FEC: 0AE8E90C
	v_mul_f32_e32 v117, v12, v117                              // 000000005FF0: 0AEAEB0C
	v_mul_f32_e32 v118, v12, v118                              // 000000005FF4: 0AECED0C
	v_mul_f32_e32 v119, v12, v119                              // 000000005FF8: 0AEEEF0C
	v_mul_f32_e32 v120, v12, v120                              // 000000005FFC: 0AF0F10C
	v_mul_f32_e32 v121, v12, v121                              // 000000006000: 0AF2F30C
	v_mul_f32_e32 v122, v12, v122                              // 000000006004: 0AF4F50C
	v_mul_f32_e32 v123, v12, v123                              // 000000006008: 0AF6F70C
	v_mul_f32_e32 v124, v12, v124                              // 00000000600C: 0AF8F90C
	v_mul_f32_e32 v125, v12, v125                              // 000000006010: 0AFAFB0C
	v_mul_f32_e32 v126, v12, v126                              // 000000006014: 0AFCFD0C
	v_mul_f32_e32 v127, v12, v127                              // 000000006018: 0AFEFF0C
	v_mul_f32_e32 v128, v12, v128                              // 00000000601C: 0B01010C
	v_mul_f32_e32 v129, v12, v129                              // 000000006020: 0B03030C
	v_mul_f32_e32 v130, v12, v130                              // 000000006024: 0B05050C
	v_mul_f32_e32 v131, v12, v131                              // 000000006028: 0B07070C
	v_mul_f32_e32 v132, v12, v132                              // 00000000602C: 0B09090C
	v_mul_f32_e32 v133, v12, v133                              // 000000006030: 0B0B0B0C
	v_mul_f32_e32 v134, v12, v134                              // 000000006034: 0B0D0D0C
	v_mul_f32_e32 v135, v12, v135                              // 000000006038: 0B0F0F0C
	v_mul_f32_e32 v136, v12, v136                              // 00000000603C: 0B11110C
	v_mul_f32_e32 v137, v12, v137                              // 000000006040: 0B13130C
	v_mul_f32_e32 v138, v12, v138                              // 000000006044: 0B15150C
	v_mul_f32_e32 v139, v12, v139                              // 000000006048: 0B17170C
	v_mul_f32_e32 v140, v12, v140                              // 00000000604C: 0B19190C
	v_mul_f32_e32 v141, v12, v141                              // 000000006050: 0B1B1B0C
	v_mul_f32_e32 v142, v12, v142                              // 000000006054: 0B1D1D0C
	v_mul_f32_e32 v143, v12, v143                              // 000000006058: 0B1F1F0C
	v_mul_f32_e32 v144, v12, v144                              // 00000000605C: 0B21210C
	v_mul_f32_e32 v145, v12, v145                              // 000000006060: 0B23230C
	v_mul_f32_e32 v146, v12, v146                              // 000000006064: 0B25250C
	v_mul_f32_e32 v147, v12, v147                              // 000000006068: 0B27270C
	v_mul_f32_e32 v148, v12, v148                              // 00000000606C: 0B29290C
	v_mul_f32_e32 v149, v12, v149                              // 000000006070: 0B2B2B0C
	v_mul_f32_e32 v150, v12, v150                              // 000000006074: 0B2D2D0C
	v_mul_f32_e32 v151, v12, v151                              // 000000006078: 0B2F2F0C
	v_mul_f32_e32 v152, v12, v152                              // 00000000607C: 0B31310C
	v_mul_f32_e32 v153, v12, v153                              // 000000006080: 0B33330C
	v_mul_f32_e32 v154, v12, v154                              // 000000006084: 0B35350C
	v_mul_f32_e32 v155, v12, v155                              // 000000006088: 0B37370C
	v_mul_f32_e32 v156, v12, v156                              // 00000000608C: 0B39390C
	v_mul_f32_e32 v157, v12, v157                              // 000000006090: 0B3B3B0C
	v_mul_f32_e32 v158, v12, v158                              // 000000006094: 0B3D3D0C
	v_mul_f32_e32 v159, v12, v159                              // 000000006098: 0B3F3F0C
	v_mul_f32_e32 v160, v12, v160                              // 00000000609C: 0B41410C
	v_mul_f32_e32 v161, v12, v161                              // 0000000060A0: 0B43430C
	s_waitcnt lgkmcnt(0)                                       // 0000000060A4: BF8CC07F
	v_mfma_f32_16x16x32_bf16 v[34:37], a[144:147], v[26:29], v[34:37]// 0000000060A8: D3B50022 0C8A3590
	v_mfma_f32_16x16x32_bf16 v[38:41], a[148:151], v[26:29], v[38:41]// 0000000060B0: D3B50026 0C9A3594
	v_mfma_f32_16x16x32_bf16 v[42:45], a[152:155], v[26:29], v[42:45]// 0000000060B8: D3B5002A 0CAA3598
	v_mfma_f32_16x16x32_bf16 v[46:49], a[156:159], v[26:29], v[46:49]// 0000000060C0: D3B5002E 0CBA359C
	v_mfma_f32_16x16x32_bf16 v[50:53], a[160:163], v[26:29], v[50:53]// 0000000060C8: D3B50032 0CCA35A0
	v_mfma_f32_16x16x32_bf16 v[54:57], a[164:167], v[26:29], v[54:57]// 0000000060D0: D3B50036 0CDA35A4
	v_mfma_f32_16x16x32_bf16 v[58:61], a[168:171], v[26:29], v[58:61]// 0000000060D8: D3B5003A 0CEA35A8
	v_mfma_f32_16x16x32_bf16 v[62:65], a[172:175], v[26:29], v[62:65]// 0000000060E0: D3B5003E 0CFA35AC
	v_mfma_f32_16x16x32_bf16 v[66:69], a[176:179], v[26:29], v[66:69]// 0000000060E8: D3B50042 0D0A35B0
	v_mfma_f32_16x16x32_bf16 v[70:73], a[180:183], v[26:29], v[70:73]// 0000000060F0: D3B50046 0D1A35B4
	v_mfma_f32_16x16x32_bf16 v[74:77], a[184:187], v[26:29], v[74:77]// 0000000060F8: D3B5004A 0D2A35B8
	ds_read_b64_tr_b16 a[144:145], v10 offset:8192             // 000000006100: DBC62000 9000000A
	ds_read_b64_tr_b16 a[146:147], v10 offset:8448             // 000000006108: DBC62100 9200000A
	ds_read_b64_tr_b16 a[148:149], v11 offset:8192             // 000000006110: DBC62000 9400000B
	ds_read_b64_tr_b16 a[150:151], v11 offset:8448             // 000000006118: DBC62100 9600000B
	v_mfma_f32_16x16x32_bf16 v[78:81], a[188:191], v[26:29], v[78:81]// 000000006120: D3B5004E 0D3A35BC
	ds_read_b64_tr_b16 a[152:153], v10 offset:9216             // 000000006128: DBC62400 9800000A
	ds_read_b64_tr_b16 a[154:155], v10 offset:9472             // 000000006130: DBC62500 9A00000A
	ds_read_b64_tr_b16 a[156:157], v11 offset:9216             // 000000006138: DBC62400 9C00000B
	ds_read_b64_tr_b16 a[158:159], v11 offset:9472             // 000000006140: DBC62500 9E00000B
	v_mfma_f32_16x16x32_bf16 v[82:85], a[192:195], v[26:29], v[82:85]// 000000006148: D3B50052 0D4A35C0
	ds_read_b64_tr_b16 a[160:161], v10 offset:10240            // 000000006150: DBC62800 A000000A
	ds_read_b64_tr_b16 a[162:163], v10 offset:10496            // 000000006158: DBC62900 A200000A
	ds_read_b64_tr_b16 a[164:165], v11 offset:10240            // 000000006160: DBC62800 A400000B
	ds_read_b64_tr_b16 a[166:167], v11 offset:10496            // 000000006168: DBC62900 A600000B
	v_mfma_f32_16x16x32_bf16 v[86:89], a[196:199], v[26:29], v[86:89]// 000000006170: D3B50056 0D5A35C4
	ds_read_b64_tr_b16 a[168:169], v10 offset:11264            // 000000006178: DBC62C00 A800000A
	ds_read_b64_tr_b16 a[170:171], v10 offset:11520            // 000000006180: DBC62D00 AA00000A
	ds_read_b64_tr_b16 a[172:173], v11 offset:11264            // 000000006188: DBC62C00 AC00000B
	ds_read_b64_tr_b16 a[174:175], v11 offset:11520            // 000000006190: DBC62D00 AE00000B
	v_mfma_f32_16x16x32_bf16 v[90:93], a[200:203], v[26:29], v[90:93]// 000000006198: D3B5005A 0D6A35C8
	ds_read_b64_tr_b16 a[176:177], v10 offset:12288            // 0000000061A0: DBC63000 B000000A
	ds_read_b64_tr_b16 a[178:179], v10 offset:12544            // 0000000061A8: DBC63100 B200000A
	ds_read_b64_tr_b16 a[180:181], v11 offset:12288            // 0000000061B0: DBC63000 B400000B
	ds_read_b64_tr_b16 a[182:183], v11 offset:12544            // 0000000061B8: DBC63100 B600000B
	v_mfma_f32_16x16x32_bf16 v[94:97], a[204:207], v[26:29], v[94:97]// 0000000061C0: D3B5005E 0D7A35CC
	ds_read_b64_tr_b16 a[184:185], v10 offset:13312            // 0000000061C8: DBC63400 B800000A
	ds_read_b64_tr_b16 a[186:187], v10 offset:13568            // 0000000061D0: DBC63500 BA00000A
	ds_read_b64_tr_b16 a[188:189], v11 offset:13312            // 0000000061D8: DBC63400 BC00000B
	ds_read_b64_tr_b16 a[190:191], v11 offset:13568            // 0000000061E0: DBC63500 BE00000B
	ds_read_b64_tr_b16 a[192:193], v10 offset:14336            // 0000000061E8: DBC63800 C000000A
	ds_read_b64_tr_b16 a[194:195], v10 offset:14592            // 0000000061F0: DBC63900 C200000A
	ds_read_b64_tr_b16 a[196:197], v11 offset:14336            // 0000000061F8: DBC63800 C400000B
	ds_read_b64_tr_b16 a[198:199], v11 offset:14592            // 000000006200: DBC63900 C600000B
	ds_read_b64_tr_b16 a[200:201], v10 offset:15360            // 000000006208: DBC63C00 C800000A
	ds_read_b64_tr_b16 a[202:203], v10 offset:15616            // 000000006210: DBC63D00 CA00000A
	ds_read_b64_tr_b16 a[204:205], v11 offset:15360            // 000000006218: DBC63C00 CC00000B
	ds_read_b64_tr_b16 a[206:207], v11 offset:15616            // 000000006220: DBC63D00 CE00000B
	s_waitcnt lgkmcnt(0)                                       // 000000006228: BF8CC07F
	v_mfma_f32_16x16x32_bf16 v[98:101], a[144:147], v[26:29], v[98:101]// 00000000622C: D3B50062 0D8A3590
	v_mfma_f32_16x16x32_bf16 v[102:105], a[148:151], v[26:29], v[102:105]// 000000006234: D3B50066 0D9A3594
	v_mfma_f32_16x16x32_bf16 v[106:109], a[152:155], v[26:29], v[106:109]// 00000000623C: D3B5006A 0DAA3598
	v_mfma_f32_16x16x32_bf16 v[110:113], a[156:159], v[26:29], v[110:113]// 000000006244: D3B5006E 0DBA359C
	v_mfma_f32_16x16x32_bf16 v[114:117], a[160:163], v[26:29], v[114:117]// 00000000624C: D3B50072 0DCA35A0
	s_waitcnt vmcnt(10)                                        // 000000006254: BF8C0F7A
	s_barrier                                                  // 000000006258: BF8A0000
	ds_read_b128 a[72:75], v14                                 // 00000000625C: DBFE0000 4800000E
	v_mfma_f32_16x16x32_bf16 v[118:121], a[164:167], v[26:29], v[118:121]// 000000006264: D3B50076 0DDA35A4
	ds_read_b128 a[76:79], v14 offset:1024                     // 00000000626C: DBFE0400 4C00000E
	v_mfma_f32_16x16x32_bf16 v[122:125], a[168:171], v[26:29], v[122:125]// 000000006274: D3B5007A 0DEA35A8
	ds_read_b128 a[80:83], v14 offset:2048                     // 00000000627C: DBFE0800 5000000E
	v_mfma_f32_16x16x32_bf16 v[126:129], a[172:175], v[26:29], v[126:129]// 000000006284: D3B5007E 0DFA35AC
	ds_read_b128 a[84:87], v14 offset:3072                     // 00000000628C: DBFE0C00 5400000E
	v_mfma_f32_16x16x32_bf16 v[130:133], a[176:179], v[26:29], v[130:133]// 000000006294: D3B50082 0E0A35B0
	ds_read_b128 a[88:91], v14 offset:4096                     // 00000000629C: DBFE1000 5800000E
	v_mfma_f32_16x16x32_bf16 v[134:137], a[180:183], v[26:29], v[134:137]// 0000000062A4: D3B50086 0E1A35B4
	ds_read_b128 a[92:95], v14 offset:5120                     // 0000000062AC: DBFE1400 5C00000E
	v_mfma_f32_16x16x32_bf16 v[138:141], a[184:187], v[26:29], v[138:141]// 0000000062B4: D3B5008A 0E2A35B8
	ds_read_b128 a[96:99], v14 offset:6144                     // 0000000062BC: DBFE1800 6000000E
	v_mfma_f32_16x16x32_bf16 v[142:145], a[188:191], v[26:29], v[142:145]// 0000000062C4: D3B5008E 0E3A35BC
	ds_read_b128 a[100:103], v14 offset:7168                   // 0000000062CC: DBFE1C00 6400000E
	v_mfma_f32_16x16x32_bf16 v[146:149], a[192:195], v[26:29], v[146:149]// 0000000062D4: D3B50092 0E4A35C0
	ds_read_b128 a[104:107], v14 offset:8192                   // 0000000062DC: DBFE2000 6800000E
	v_mfma_f32_16x16x32_bf16 v[150:153], a[196:199], v[26:29], v[150:153]// 0000000062E4: D3B50096 0E5A35C4
	ds_read_b128 a[108:111], v14 offset:9216                   // 0000000062EC: DBFE2400 6C00000E
	v_mfma_f32_16x16x32_bf16 v[154:157], a[200:203], v[26:29], v[154:157]// 0000000062F4: D3B5009A 0E6A35C8
	ds_read_b128 a[112:115], v14 offset:10240                  // 0000000062FC: DBFE2800 7000000E
	v_mfma_f32_16x16x32_bf16 v[158:161], a[204:207], v[26:29], v[158:161]// 000000006304: D3B5009E 0E7A35CC
	ds_read_b128 a[116:119], v14 offset:11264                  // 00000000630C: DBFE2C00 7400000E
	ds_read_b128 a[120:123], v14 offset:12288                  // 000000006314: DBFE3000 7800000E
	ds_read_b128 a[124:127], v14 offset:13312                  // 00000000631C: DBFE3400 7C00000E
	ds_read_b128 a[128:131], v14 offset:14336                  // 000000006324: DBFE3800 8000000E
	ds_read_b128 a[132:135], v14 offset:15360                  // 00000000632C: DBFE3C00 8400000E
	ds_read_b128 a[136:139], v14 offset:16384                  // 000000006334: DBFE4000 8800000E
	ds_read_b128 a[140:143], v14 offset:17408                  // 00000000633C: DBFE4400 8C00000E
	s_addk_i32 s70, 0x1                                        // 000000006344: B7460001
	s_cmp_lt_i32 s70, s71                                      // 000000006348: BF044746
	s_cbranch_scc0 label_2B6C                                  // 00000000634C: BF84FAC7
	s_waitcnt lgkmcnt(4)                                       // 000000006350: BF8CC47F
	v_mfma_f32_16x16x32_bf16 v[26:29], a[72:75], a[0:3], 0     // 000000006354: D3B5001A 1A020148
	v_mul_u32_u24_e64 v25, v18, s68                            // 00000000635C: D1080019 00008912
	v_add_u32_e32 v25, v25, v1                                 // 000000006364: 68320319
	buffer_load_dword v17, v21, s[24:27], 0 offen              // 000000006368: E0501000 80061115
	ds_read_b128 a[72:75], v14 offset:18432                    // 000000006370: DBFE4800 4800000E
	v_mfma_f32_16x16x32_bf16 v[26:29], a[76:79], a[4:7], v[26:29]// 000000006378: D3B5001A 1C6A094C
	s_mov_b32 s56, 0x1d000                                     // 000000006380: BEB800FF 0001D000
	s_mul_i32 s57, s7, 0x2400                                  // 000000006388: 9239FF07 00002400
	s_add_u32 m0, s56, s57                                     // 000000006390: 807C3938
	buffer_load_dwordx4 v25, s[20:23], 0 offen lds             // 000000006394: E05D1000 80050019
	s_add_i32 m0, m0, 0x3c0                                    // 00000000639C: 817CFF7C 000003C0
	v_mfma_f32_16x16x32_bf16 v[26:29], a[80:83], a[8:11], v[26:29]// 0000000063A4: D3B5001A 1C6A1150
	ds_read_b128 a[76:79], v14 offset:19456                    // 0000000063AC: DBFE4C00 4C00000E
	v_mfma_f32_16x16x32_bf16 v[26:29], a[84:87], a[12:15], v[26:29]// 0000000063B4: D3B5001A 1C6A1954
	buffer_load_dwordx4 v25, s[20:23], 0 offen offset:64 lds   // 0000000063BC: E05D1040 80050019
	s_add_i32 m0, m0, 0x3c0                                    // 0000000063C4: 817CFF7C 000003C0
	v_mfma_f32_16x16x32_bf16 v[26:29], a[88:91], a[16:19], v[26:29]// 0000000063CC: D3B5001A 1C6A2158
	ds_read_b128 a[80:83], v14 offset:20480                    // 0000000063D4: DBFE5000 5000000E
	v_mfma_f32_16x16x32_bf16 v[26:29], a[92:95], a[20:23], v[26:29]// 0000000063DC: D3B5001A 1C6A295C
	buffer_load_dwordx4 v25, s[20:23], 0 offen offset:128 lds  // 0000000063E4: E05D1080 80050019
	s_add_i32 m0, m0, 0x3c0                                    // 0000000063EC: 817CFF7C 000003C0
	v_mfma_f32_16x16x32_bf16 v[26:29], a[96:99], a[24:27], v[26:29]// 0000000063F4: D3B5001A 1C6A3160
	ds_read_b128 a[84:87], v14 offset:21504                    // 0000000063FC: DBFE5400 5400000E
	v_mfma_f32_16x16x32_bf16 v[26:29], a[100:103], a[28:31], v[26:29]// 000000006404: D3B5001A 1C6A3964
	buffer_load_dwordx4 v25, s[20:23], 0 offen offset:192 lds  // 00000000640C: E05D10C0 80050019
	s_add_i32 m0, m0, 0x3c0                                    // 000000006414: 817CFF7C 000003C0
	v_mfma_f32_16x16x32_bf16 v[26:29], a[104:107], a[32:35], v[26:29]// 00000000641C: D3B5001A 1C6A4168
	ds_read_b128 a[88:91], v14 offset:22528                    // 000000006424: DBFE5800 5800000E
	v_mfma_f32_16x16x32_bf16 v[26:29], a[108:111], a[36:39], v[26:29]// 00000000642C: D3B5001A 1C6A496C
	buffer_load_dwordx4 v25, s[20:23], 0 offen offset:256 lds  // 000000006434: E05D1100 80050019
	s_add_i32 m0, m0, 0x3c0                                    // 00000000643C: 817CFF7C 000003C0
	v_mfma_f32_16x16x32_bf16 v[26:29], a[112:115], a[40:43], v[26:29]// 000000006444: D3B5001A 1C6A5170
	ds_read_b128 a[92:95], v14 offset:23552                    // 00000000644C: DBFE5C00 5C00000E
	v_mfma_f32_16x16x32_bf16 v[26:29], a[116:119], a[44:47], v[26:29]// 000000006454: D3B5001A 1C6A5974
	buffer_load_dwordx4 v25, s[20:23], 0 offen offset:320 lds  // 00000000645C: E05D1140 80050019
	s_add_i32 m0, m0, 0x3c0                                    // 000000006464: 817CFF7C 000003C0
	v_mfma_f32_16x16x32_bf16 v[26:29], a[120:123], a[48:51], v[26:29]// 00000000646C: D3B5001A 1C6A6178
	ds_read_b128 a[96:99], v14 offset:24576                    // 000000006474: DBFE6000 6000000E
	v_mfma_f32_16x16x32_bf16 v[26:29], a[124:127], a[52:55], v[26:29]// 00000000647C: D3B5001A 1C6A697C
	buffer_load_dwordx4 v25, s[20:23], 0 offen offset:384 lds  // 000000006484: E05D1180 80050019
	s_add_i32 m0, m0, 0x3c0                                    // 00000000648C: 817CFF7C 000003C0
	v_mfma_f32_16x16x32_bf16 v[26:29], a[128:131], a[56:59], v[26:29]// 000000006494: D3B5001A 1C6A7180
	ds_read_b128 a[100:103], v14 offset:25600                  // 00000000649C: DBFE6400 6400000E
	v_mfma_f32_16x16x32_bf16 v[26:29], a[132:135], a[60:63], v[26:29]// 0000000064A4: D3B5001A 1C6A7984
	buffer_load_dwordx4 v25, s[20:23], 0 offen offset:448 lds  // 0000000064AC: E05D11C0 80050019
	s_add_i32 m0, m0, 0x3c0                                    // 0000000064B4: 817CFF7C 000003C0
	v_mfma_f32_16x16x32_bf16 v[26:29], a[136:139], a[64:67], v[26:29]// 0000000064BC: D3B5001A 1C6A8188
	ds_read_b128 a[104:107], v14 offset:26624                  // 0000000064C4: DBFE6800 6800000E
	v_mfma_f32_16x16x32_bf16 v[26:29], a[140:143], a[68:71], v[26:29]// 0000000064CC: D3B5001A 1C6A898C
	buffer_load_dwordx4 v25, s[20:23], 0 offen offset:512 lds  // 0000000064D4: E05D1200 80050019
	s_add_i32 m0, m0, 0x3c0                                    // 0000000064DC: 817CFF7C 000003C0
	ds_read_b128 a[108:111], v14 offset:27648                  // 0000000064E4: DBFE6C00 6C00000E
	ds_read_b128 a[112:115], v14 offset:28672                  // 0000000064EC: DBFE7000 7000000E
	ds_read_b128 a[116:119], v14 offset:29696                  // 0000000064F4: DBFE7400 7400000E
	ds_read_b128 a[120:123], v14 offset:30720                  // 0000000064FC: DBFE7800 7800000E
	ds_read_b128 a[124:127], v14 offset:31744                  // 000000006504: DBFE7C00 7C00000E
	ds_read_b128 a[128:131], v14 offset:32768                  // 00000000650C: DBFE8000 8000000E
	ds_read_b128 a[132:135], v14 offset:33792                  // 000000006514: DBFE8400 8400000E
	ds_read_b128 a[136:139], v14 offset:34816                  // 00000000651C: DBFE8800 8800000E
	ds_read_b128 a[140:143], v14 offset:35840                  // 000000006524: DBFE8C00 8C00000E
	v_add_u32_e32 v21, s73, v21                                // 00000000652C: 682A2A49
	s_waitcnt lgkmcnt(4)                                       // 000000006530: BF8CC47F
	v_mfma_f32_16x16x32_bf16 v[30:33], a[72:75], a[0:3], 0     // 000000006534: D3B5001E 1A020148
	ds_read_b64_tr_b16 a[144:145], v6                          // 00000000653C: DBC60000 90000006
	ds_read_b64_tr_b16 a[146:147], v6 offset:256               // 000000006544: DBC60100 92000006
	ds_read_b64_tr_b16 a[148:149], v7                          // 00000000654C: DBC60000 94000007
	ds_read_b64_tr_b16 a[150:151], v7 offset:256               // 000000006554: DBC60100 96000007
	v_mfma_f32_16x16x32_bf16 v[30:33], a[76:79], a[4:7], v[30:33]// 00000000655C: D3B5001E 1C7A094C
	v_mfma_f32_16x16x32_bf16 v[30:33], a[80:83], a[8:11], v[30:33]// 000000006564: D3B5001E 1C7A1150
	ds_read_b64_tr_b16 a[152:153], v6 offset:1024              // 00000000656C: DBC60400 98000006
	ds_read_b64_tr_b16 a[154:155], v6 offset:1280              // 000000006574: DBC60500 9A000006
	ds_read_b64_tr_b16 a[156:157], v7 offset:1024              // 00000000657C: DBC60400 9C000007
	ds_read_b64_tr_b16 a[158:159], v7 offset:1280              // 000000006584: DBC60500 9E000007
	v_mfma_f32_16x16x32_bf16 v[30:33], a[84:87], a[12:15], v[30:33]// 00000000658C: D3B5001E 1C7A1954
	v_mfma_f32_16x16x32_bf16 v[30:33], a[88:91], a[16:19], v[30:33]// 000000006594: D3B5001E 1C7A2158
	ds_read_b64_tr_b16 a[160:161], v6 offset:2048              // 00000000659C: DBC60800 A0000006
	ds_read_b64_tr_b16 a[162:163], v6 offset:2304              // 0000000065A4: DBC60900 A2000006
	ds_read_b64_tr_b16 a[164:165], v7 offset:2048              // 0000000065AC: DBC60800 A4000007
	ds_read_b64_tr_b16 a[166:167], v7 offset:2304              // 0000000065B4: DBC60900 A6000007
	v_mfma_f32_16x16x32_bf16 v[30:33], a[92:95], a[20:23], v[30:33]// 0000000065BC: D3B5001E 1C7A295C
	v_mfma_f32_16x16x32_bf16 v[30:33], a[96:99], a[24:27], v[30:33]// 0000000065C4: D3B5001E 1C7A3160
	ds_read_b64_tr_b16 a[168:169], v6 offset:3072              // 0000000065CC: DBC60C00 A8000006
	ds_read_b64_tr_b16 a[170:171], v6 offset:3328              // 0000000065D4: DBC60D00 AA000006
	ds_read_b64_tr_b16 a[172:173], v7 offset:3072              // 0000000065DC: DBC60C00 AC000007
	ds_read_b64_tr_b16 a[174:175], v7 offset:3328              // 0000000065E4: DBC60D00 AE000007
	v_mfma_f32_16x16x32_bf16 v[30:33], a[100:103], a[28:31], v[30:33]// 0000000065EC: D3B5001E 1C7A3964
	v_mfma_f32_16x16x32_bf16 v[30:33], a[104:107], a[32:35], v[30:33]// 0000000065F4: D3B5001E 1C7A4168
	ds_read_b64_tr_b16 a[176:177], v6 offset:4096              // 0000000065FC: DBC61000 B0000006
	ds_read_b64_tr_b16 a[178:179], v6 offset:4352              // 000000006604: DBC61100 B2000006
	ds_read_b64_tr_b16 a[180:181], v7 offset:4096              // 00000000660C: DBC61000 B4000007
	ds_read_b64_tr_b16 a[182:183], v7 offset:4352              // 000000006614: DBC61100 B6000007
	v_mfma_f32_16x16x32_bf16 v[30:33], a[108:111], a[36:39], v[30:33]// 00000000661C: D3B5001E 1C7A496C
	v_mfma_f32_16x16x32_bf16 v[30:33], a[112:115], a[40:43], v[30:33]// 000000006624: D3B5001E 1C7A5170
	ds_read_b64_tr_b16 a[184:185], v6 offset:5120              // 00000000662C: DBC61400 B8000006
	ds_read_b64_tr_b16 a[186:187], v6 offset:5376              // 000000006634: DBC61500 BA000006
	ds_read_b64_tr_b16 a[188:189], v7 offset:5120              // 00000000663C: DBC61400 BC000007
	ds_read_b64_tr_b16 a[190:191], v7 offset:5376              // 000000006644: DBC61500 BE000007
	v_mfma_f32_16x16x32_bf16 v[30:33], a[116:119], a[44:47], v[30:33]// 00000000664C: D3B5001E 1C7A5974
	v_mfma_f32_16x16x32_bf16 v[30:33], a[120:123], a[48:51], v[30:33]// 000000006654: D3B5001E 1C7A6178
	ds_read_b64_tr_b16 a[192:193], v6 offset:6144              // 00000000665C: DBC61800 C0000006
	ds_read_b64_tr_b16 a[194:195], v6 offset:6400              // 000000006664: DBC61900 C2000006
	ds_read_b64_tr_b16 a[196:197], v7 offset:6144              // 00000000666C: DBC61800 C4000007
	ds_read_b64_tr_b16 a[198:199], v7 offset:6400              // 000000006674: DBC61900 C6000007
	v_mfma_f32_16x16x32_bf16 v[30:33], a[124:127], a[52:55], v[30:33]// 00000000667C: D3B5001E 1C7A697C
	v_mfma_f32_16x16x32_bf16 v[30:33], a[128:131], a[56:59], v[30:33]// 000000006684: D3B5001E 1C7A7180
	ds_read_b64_tr_b16 a[200:201], v6 offset:7168              // 00000000668C: DBC61C00 C8000006
	ds_read_b64_tr_b16 a[202:203], v6 offset:7424              // 000000006694: DBC61D00 CA000006
	ds_read_b64_tr_b16 a[204:205], v7 offset:7168              // 00000000669C: DBC61C00 CC000007
	ds_read_b64_tr_b16 a[206:207], v7 offset:7424              // 0000000066A4: DBC61D00 CE000007
	v_mfma_f32_16x16x32_bf16 v[30:33], a[132:135], a[60:63], v[30:33]// 0000000066AC: D3B5001E 1C7A7984
	v_mfma_f32_16x16x32_bf16 v[30:33], a[136:139], a[64:67], v[30:33]// 0000000066B4: D3B5001E 1C7A8188
	v_mfma_f32_16x16x32_bf16 v[30:33], a[140:143], a[68:71], v[30:33]// 0000000066BC: D3B5001E 1C7A898C
	s_cmp_le_i32 s83, s82                                      // 0000000066C4: BF055253
	s_cbranch_scc1 label_44C0                                  // 0000000066C8: BF85003D
	v_mov_b32_e32 v22, s82                                     // 0000000066CC: 7E2C0252
	s_sub_u32 s58, s81, s80                                    // 0000000066D0: 80BA5051
	s_add_u32 s58, s58, s7                                     // 0000000066D4: 803A073A
	v_add_u32_e32 v22, s58, v22                                // 0000000066D8: 682C2C3A
	s_sub_u32 s56, s83, 31                                     // 0000000066DC: 80B89F53
	v_lshrrev_b32_e32 v162, 4, v0                              // 0000000066E0: 21440084
	v_mul_i32_i24_e32 v162, 4, v162                            // 0000000066E4: 0D454484
	v_add_u32_e32 v162, s56, v162                              // 0000000066E8: 69454438
	v_add_u32_e32 v163, 1, v162                                // 0000000066EC: 69474481
	v_add_u32_e32 v164, 2, v162                                // 0000000066F0: 69494482
	v_add_u32_e32 v165, 3, v162                                // 0000000066F4: 694B4483
	v_mov_b32_e32 v23, 0xff800000                              // 0000000066F8: 7E2E02FF FF800000
	v_cmp_le_u32_e64 s[36:37], v162, v22                       // 000000006700: D0CB0024 00022DA2
	v_add_u32_e32 v162, 16, v162                               // 000000006708: 69454490
	s_nop 0                                                    // 00000000670C: BF800000
	v_cndmask_b32_e64 v26, v23, v26, s[36:37]                  // 000000006710: D100001A 00923517
	v_cmp_le_u32_e64 s[36:37], v163, v22                       // 000000006718: D0CB0024 00022DA3
	v_add_u32_e32 v163, 16, v163                               // 000000006720: 69474690
	s_nop 0                                                    // 000000006724: BF800000
	v_cndmask_b32_e64 v27, v23, v27, s[36:37]                  // 000000006728: D100001B 00923717
	v_cmp_le_u32_e64 s[36:37], v164, v22                       // 000000006730: D0CB0024 00022DA4
	v_add_u32_e32 v164, 16, v164                               // 000000006738: 69494890
	s_nop 0                                                    // 00000000673C: BF800000
	v_cndmask_b32_e64 v28, v23, v28, s[36:37]                  // 000000006740: D100001C 00923917
	v_cmp_le_u32_e64 s[36:37], v165, v22                       // 000000006748: D0CB0024 00022DA5
	v_add_u32_e32 v165, 16, v165                               // 000000006750: 694B4A90
	s_nop 0                                                    // 000000006754: BF800000
	v_cndmask_b32_e64 v29, v23, v29, s[36:37]                  // 000000006758: D100001D 00923B17
	v_cmp_le_u32_e64 s[36:37], v162, v22                       // 000000006760: D0CB0024 00022DA2
	v_add_u32_e32 v162, 16, v162                               // 000000006768: 69454490
	s_nop 0                                                    // 00000000676C: BF800000
	v_cndmask_b32_e64 v30, v23, v30, s[36:37]                  // 000000006770: D100001E 00923D17
	v_cmp_le_u32_e64 s[36:37], v163, v22                       // 000000006778: D0CB0024 00022DA3
	v_add_u32_e32 v163, 16, v163                               // 000000006780: 69474690
	s_nop 0                                                    // 000000006784: BF800000
	v_cndmask_b32_e64 v31, v23, v31, s[36:37]                  // 000000006788: D100001F 00923F17
	v_cmp_le_u32_e64 s[36:37], v164, v22                       // 000000006790: D0CB0024 00022DA4
	v_add_u32_e32 v164, 16, v164                               // 000000006798: 69494890
	s_nop 0                                                    // 00000000679C: BF800000
	v_cndmask_b32_e64 v32, v23, v32, s[36:37]                  // 0000000067A0: D1000020 00924117
	v_cmp_le_u32_e64 s[36:37], v165, v22                       // 0000000067A8: D0CB0024 00022DA5
	v_add_u32_e32 v165, 16, v165                               // 0000000067B0: 694B4A90
	s_nop 0                                                    // 0000000067B4: BF800000
	v_cndmask_b32_e64 v33, v23, v33, s[36:37]                  // 0000000067B8: D1000021 00924317

00000000000067c0 <label_44C0>:
	s_add_u32 s83, s84, s83                                    // 0000000067C0: 80535354
	s_nop 2                                                    // 0000000067C4: BF800002
	v_mov_b32_e32 v23, v26                                     // 0000000067C8: 7E2E031A
	v_max3_f32 v23, v26, v27, v23                              // 0000000067CC: D1D30017 045E371A
	v_max3_f32 v23, v28, v29, v23                              // 0000000067D4: D1D30017 045E3B1C
	v_max3_f32 v23, v30, v31, v23                              // 0000000067DC: D1D30017 045E3F1E
	v_max3_f32 v23, v32, v33, v23                              // 0000000067E4: D1D30017 045E4320
	v_mov_b32_e32 v22, v23                                     // 0000000067EC: 7E2C0317
	v_mov_b32_e32 v23, v23                                     // 0000000067F0: 7E2E0317
	s_nop 1                                                    // 0000000067F4: BF800001
	v_permlane16_swap_b32_e32 v22, v23                         // 0000000067F8: 7E2CB317
	v_mov_b32_e32 v25, v22                                     // 0000000067FC: 7E320316
	v_mov_b32_e32 v24, v23                                     // 000000006800: 7E300317
	s_nop 1                                                    // 000000006804: BF800001
	v_permlane32_swap_b32_e32 v22, v23                         // 000000006808: 7E2CB517
	v_permlane32_swap_b32_e32 v24, v25                         // 00000000680C: 7E30B519
	v_max3_f32 v23, v22, v23, v23                              // 000000006810: D1D30017 045E2F16
	v_max3_f32 v23, v24, v25, v23                              // 000000006818: D1D30017 045E3318
	v_mov_b32_e32 v22, 0xff800000                              // 000000006820: 7E2C02FF FF800000
	v_cmp_eq_u32_e64 s[36:37], v22, v2                         // 000000006828: D0CA0024 00020516
	v_max_f32_e32 v23, v23, v2                                 // 000000006830: 162E0517
	v_sub_f32_e32 v12, v2, v23                                 // 000000006834: 04182F02
	v_cndmask_b32_e64 v12, v12, 0, s[36:37]                    // 000000006838: D100000C 0091010C
	v_mov_b32_e32 v2, v23                                      // 000000006840: 7E040317
	v_mul_f32_e32 v23, s5, v23                                 // 000000006844: 0A2E2E05
	v_mul_f32_e32 v12, s5, v12                                 // 000000006848: 0A181805
	v_exp_f32_e32 v12, v12                                     // 00000000684C: 7E18410C
	v_fma_f32 v26, v26, s5, -v23                               // 000000006850: D1CB001A 845C0B1A
	v_fma_f32 v27, v27, s5, -v23                               // 000000006858: D1CB001B 845C0B1B
	v_fma_f32 v28, v28, s5, -v23                               // 000000006860: D1CB001C 845C0B1C
	v_fma_f32 v29, v29, s5, -v23                               // 000000006868: D1CB001D 845C0B1D
	v_fma_f32 v30, v30, s5, -v23                               // 000000006870: D1CB001E 845C0B1E
	v_fma_f32 v31, v31, s5, -v23                               // 000000006878: D1CB001F 845C0B1F
	v_fma_f32 v32, v32, s5, -v23                               // 000000006880: D1CB0020 845C0B20
	v_fma_f32 v33, v33, s5, -v23                               // 000000006888: D1CB0021 845C0B21
	v_exp_f32_e32 v26, v26                                     // 000000006890: 7E34411A
	v_exp_f32_e32 v27, v27                                     // 000000006894: 7E36411B
	v_exp_f32_e32 v28, v28                                     // 000000006898: 7E38411C
	v_exp_f32_e32 v29, v29                                     // 00000000689C: 7E3A411D
	v_exp_f32_e32 v30, v30                                     // 0000000068A0: 7E3C411E
	v_exp_f32_e32 v31, v31                                     // 0000000068A4: 7E3E411F
	v_exp_f32_e32 v32, v32                                     // 0000000068A8: 7E404120
	v_exp_f32_e32 v33, v33                                     // 0000000068AC: 7E424121
	v_mul_f32_e32 v4, v12, v4                                  // 0000000068B0: 0A08090C
	v_mov_b32_e32 v22, v26                                     // 0000000068B4: 7E2C031A
	v_add_f32_e32 v22, v27, v22                                // 0000000068B8: 022C2D1B
	v_add_f32_e32 v22, v28, v22                                // 0000000068BC: 022C2D1C
	v_add_f32_e32 v22, v29, v22                                // 0000000068C0: 022C2D1D
	v_add_f32_e32 v22, v30, v22                                // 0000000068C4: 022C2D1E
	v_add_f32_e32 v22, v31, v22                                // 0000000068C8: 022C2D1F
	v_add_f32_e32 v22, v32, v22                                // 0000000068CC: 022C2D20
	v_add_f32_e32 v22, v33, v22                                // 0000000068D0: 022C2D21
	v_add_f32_e32 v4, v22, v4                                  // 0000000068D4: 02080916
	v_cvt_pk_bf16_f32 v26, v26, v27                            // 0000000068D8: D268001A 0002371A
	v_cvt_pk_bf16_f32 v27, v28, v29                            // 0000000068E0: D268001B 00023B1C
	v_cvt_pk_bf16_f32 v28, v30, v31                            // 0000000068E8: D268001C 00023F1E
	v_cvt_pk_bf16_f32 v29, v32, v33                            // 0000000068F0: D268001D 00024320
	s_nop 0                                                    // 0000000068F8: BF800000
	v_permlane32_swap_b32_e32 v26, v28                         // 0000000068FC: 7E34B51C
	v_permlane32_swap_b32_e32 v27, v29                         // 000000006900: 7E36B51D
	s_nop 0                                                    // 000000006904: BF800000
	v_permlane16_swap_b32_e32 v26, v28                         // 000000006908: 7E34B31C
	v_permlane16_swap_b32_e32 v27, v29                         // 00000000690C: 7E36B31D
	v_mul_f32_e32 v34, v12, v34                                // 000000006910: 0A44450C
	v_mul_f32_e32 v35, v12, v35                                // 000000006914: 0A46470C
	v_mul_f32_e32 v36, v12, v36                                // 000000006918: 0A48490C
	v_mul_f32_e32 v37, v12, v37                                // 00000000691C: 0A4A4B0C
	v_mul_f32_e32 v38, v12, v38                                // 000000006920: 0A4C4D0C
	v_mul_f32_e32 v39, v12, v39                                // 000000006924: 0A4E4F0C
	v_mul_f32_e32 v40, v12, v40                                // 000000006928: 0A50510C
	v_mul_f32_e32 v41, v12, v41                                // 00000000692C: 0A52530C
	v_mul_f32_e32 v42, v12, v42                                // 000000006930: 0A54550C
	v_mul_f32_e32 v43, v12, v43                                // 000000006934: 0A56570C
	v_mul_f32_e32 v44, v12, v44                                // 000000006938: 0A58590C
	v_mul_f32_e32 v45, v12, v45                                // 00000000693C: 0A5A5B0C
	v_mul_f32_e32 v46, v12, v46                                // 000000006940: 0A5C5D0C
	v_mul_f32_e32 v47, v12, v47                                // 000000006944: 0A5E5F0C
	v_mul_f32_e32 v48, v12, v48                                // 000000006948: 0A60610C
	v_mul_f32_e32 v49, v12, v49                                // 00000000694C: 0A62630C
	v_mul_f32_e32 v50, v12, v50                                // 000000006950: 0A64650C
	v_mul_f32_e32 v51, v12, v51                                // 000000006954: 0A66670C
	v_mul_f32_e32 v52, v12, v52                                // 000000006958: 0A68690C
	v_mul_f32_e32 v53, v12, v53                                // 00000000695C: 0A6A6B0C
	v_mul_f32_e32 v54, v12, v54                                // 000000006960: 0A6C6D0C
	v_mul_f32_e32 v55, v12, v55                                // 000000006964: 0A6E6F0C
	v_mul_f32_e32 v56, v12, v56                                // 000000006968: 0A70710C
	v_mul_f32_e32 v57, v12, v57                                // 00000000696C: 0A72730C
	v_mul_f32_e32 v58, v12, v58                                // 000000006970: 0A74750C
	v_mul_f32_e32 v59, v12, v59                                // 000000006974: 0A76770C
	v_mul_f32_e32 v60, v12, v60                                // 000000006978: 0A78790C
	v_mul_f32_e32 v61, v12, v61                                // 00000000697C: 0A7A7B0C
	v_mul_f32_e32 v62, v12, v62                                // 000000006980: 0A7C7D0C
	v_mul_f32_e32 v63, v12, v63                                // 000000006984: 0A7E7F0C
	v_mul_f32_e32 v64, v12, v64                                // 000000006988: 0A80810C
	v_mul_f32_e32 v65, v12, v65                                // 00000000698C: 0A82830C
	v_mul_f32_e32 v66, v12, v66                                // 000000006990: 0A84850C
	v_mul_f32_e32 v67, v12, v67                                // 000000006994: 0A86870C
	v_mul_f32_e32 v68, v12, v68                                // 000000006998: 0A88890C
	v_mul_f32_e32 v69, v12, v69                                // 00000000699C: 0A8A8B0C
	v_mul_f32_e32 v70, v12, v70                                // 0000000069A0: 0A8C8D0C
	v_mul_f32_e32 v71, v12, v71                                // 0000000069A4: 0A8E8F0C
	v_mul_f32_e32 v72, v12, v72                                // 0000000069A8: 0A90910C
	v_mul_f32_e32 v73, v12, v73                                // 0000000069AC: 0A92930C
	v_mul_f32_e32 v74, v12, v74                                // 0000000069B0: 0A94950C
	v_mul_f32_e32 v75, v12, v75                                // 0000000069B4: 0A96970C
	v_mul_f32_e32 v76, v12, v76                                // 0000000069B8: 0A98990C
	v_mul_f32_e32 v77, v12, v77                                // 0000000069BC: 0A9A9B0C
	v_mul_f32_e32 v78, v12, v78                                // 0000000069C0: 0A9C9D0C
	v_mul_f32_e32 v79, v12, v79                                // 0000000069C4: 0A9E9F0C
	v_mul_f32_e32 v80, v12, v80                                // 0000000069C8: 0AA0A10C
	v_mul_f32_e32 v81, v12, v81                                // 0000000069CC: 0AA2A30C
	v_mul_f32_e32 v82, v12, v82                                // 0000000069D0: 0AA4A50C
	v_mul_f32_e32 v83, v12, v83                                // 0000000069D4: 0AA6A70C
	v_mul_f32_e32 v84, v12, v84                                // 0000000069D8: 0AA8A90C
	v_mul_f32_e32 v85, v12, v85                                // 0000000069DC: 0AAAAB0C
	v_mul_f32_e32 v86, v12, v86                                // 0000000069E0: 0AACAD0C
	v_mul_f32_e32 v87, v12, v87                                // 0000000069E4: 0AAEAF0C
	v_mul_f32_e32 v88, v12, v88                                // 0000000069E8: 0AB0B10C
	v_mul_f32_e32 v89, v12, v89                                // 0000000069EC: 0AB2B30C
	v_mul_f32_e32 v90, v12, v90                                // 0000000069F0: 0AB4B50C
	v_mul_f32_e32 v91, v12, v91                                // 0000000069F4: 0AB6B70C
	v_mul_f32_e32 v92, v12, v92                                // 0000000069F8: 0AB8B90C
	v_mul_f32_e32 v93, v12, v93                                // 0000000069FC: 0ABABB0C
	v_mul_f32_e32 v94, v12, v94                                // 000000006A00: 0ABCBD0C
	v_mul_f32_e32 v95, v12, v95                                // 000000006A04: 0ABEBF0C
	v_mul_f32_e32 v96, v12, v96                                // 000000006A08: 0AC0C10C
	v_mul_f32_e32 v97, v12, v97                                // 000000006A0C: 0AC2C30C
	v_mul_f32_e32 v98, v12, v98                                // 000000006A10: 0AC4C50C
	v_mul_f32_e32 v99, v12, v99                                // 000000006A14: 0AC6C70C
	v_mul_f32_e32 v100, v12, v100                              // 000000006A18: 0AC8C90C
	v_mul_f32_e32 v101, v12, v101                              // 000000006A1C: 0ACACB0C
	v_mul_f32_e32 v102, v12, v102                              // 000000006A20: 0ACCCD0C
	v_mul_f32_e32 v103, v12, v103                              // 000000006A24: 0ACECF0C
	v_mul_f32_e32 v104, v12, v104                              // 000000006A28: 0AD0D10C
	v_mul_f32_e32 v105, v12, v105                              // 000000006A2C: 0AD2D30C
	v_mul_f32_e32 v106, v12, v106                              // 000000006A30: 0AD4D50C
	v_mul_f32_e32 v107, v12, v107                              // 000000006A34: 0AD6D70C
	v_mul_f32_e32 v108, v12, v108                              // 000000006A38: 0AD8D90C
	v_mul_f32_e32 v109, v12, v109                              // 000000006A3C: 0ADADB0C
	v_mul_f32_e32 v110, v12, v110                              // 000000006A40: 0ADCDD0C
	v_mul_f32_e32 v111, v12, v111                              // 000000006A44: 0ADEDF0C
	v_mul_f32_e32 v112, v12, v112                              // 000000006A48: 0AE0E10C
	v_mul_f32_e32 v113, v12, v113                              // 000000006A4C: 0AE2E30C
	v_mul_f32_e32 v114, v12, v114                              // 000000006A50: 0AE4E50C
	v_mul_f32_e32 v115, v12, v115                              // 000000006A54: 0AE6E70C
	v_mul_f32_e32 v116, v12, v116                              // 000000006A58: 0AE8E90C
	v_mul_f32_e32 v117, v12, v117                              // 000000006A5C: 0AEAEB0C
	v_mul_f32_e32 v118, v12, v118                              // 000000006A60: 0AECED0C
	v_mul_f32_e32 v119, v12, v119                              // 000000006A64: 0AEEEF0C
	v_mul_f32_e32 v120, v12, v120                              // 000000006A68: 0AF0F10C
	v_mul_f32_e32 v121, v12, v121                              // 000000006A6C: 0AF2F30C
	v_mul_f32_e32 v122, v12, v122                              // 000000006A70: 0AF4F50C
	v_mul_f32_e32 v123, v12, v123                              // 000000006A74: 0AF6F70C
	v_mul_f32_e32 v124, v12, v124                              // 000000006A78: 0AF8F90C
	v_mul_f32_e32 v125, v12, v125                              // 000000006A7C: 0AFAFB0C
	v_mul_f32_e32 v126, v12, v126                              // 000000006A80: 0AFCFD0C
	v_mul_f32_e32 v127, v12, v127                              // 000000006A84: 0AFEFF0C
	v_mul_f32_e32 v128, v12, v128                              // 000000006A88: 0B01010C
	v_mul_f32_e32 v129, v12, v129                              // 000000006A8C: 0B03030C
	v_mul_f32_e32 v130, v12, v130                              // 000000006A90: 0B05050C
	v_mul_f32_e32 v131, v12, v131                              // 000000006A94: 0B07070C
	v_mul_f32_e32 v132, v12, v132                              // 000000006A98: 0B09090C
	v_mul_f32_e32 v133, v12, v133                              // 000000006A9C: 0B0B0B0C
	v_mul_f32_e32 v134, v12, v134                              // 000000006AA0: 0B0D0D0C
	v_mul_f32_e32 v135, v12, v135                              // 000000006AA4: 0B0F0F0C
	v_mul_f32_e32 v136, v12, v136                              // 000000006AA8: 0B11110C
	v_mul_f32_e32 v137, v12, v137                              // 000000006AAC: 0B13130C
	v_mul_f32_e32 v138, v12, v138                              // 000000006AB0: 0B15150C
	v_mul_f32_e32 v139, v12, v139                              // 000000006AB4: 0B17170C
	v_mul_f32_e32 v140, v12, v140                              // 000000006AB8: 0B19190C
	v_mul_f32_e32 v141, v12, v141                              // 000000006ABC: 0B1B1B0C
	v_mul_f32_e32 v142, v12, v142                              // 000000006AC0: 0B1D1D0C
	v_mul_f32_e32 v143, v12, v143                              // 000000006AC4: 0B1F1F0C
	v_mul_f32_e32 v144, v12, v144                              // 000000006AC8: 0B21210C
	v_mul_f32_e32 v145, v12, v145                              // 000000006ACC: 0B23230C
	v_mul_f32_e32 v146, v12, v146                              // 000000006AD0: 0B25250C
	v_mul_f32_e32 v147, v12, v147                              // 000000006AD4: 0B27270C
	v_mul_f32_e32 v148, v12, v148                              // 000000006AD8: 0B29290C
	v_mul_f32_e32 v149, v12, v149                              // 000000006ADC: 0B2B2B0C
	v_mul_f32_e32 v150, v12, v150                              // 000000006AE0: 0B2D2D0C
	v_mul_f32_e32 v151, v12, v151                              // 000000006AE4: 0B2F2F0C
	v_mul_f32_e32 v152, v12, v152                              // 000000006AE8: 0B31310C
	v_mul_f32_e32 v153, v12, v153                              // 000000006AEC: 0B33330C
	v_mul_f32_e32 v154, v12, v154                              // 000000006AF0: 0B35350C
	v_mul_f32_e32 v155, v12, v155                              // 000000006AF4: 0B37370C
	v_mul_f32_e32 v156, v12, v156                              // 000000006AF8: 0B39390C
	v_mul_f32_e32 v157, v12, v157                              // 000000006AFC: 0B3B3B0C
	v_mul_f32_e32 v158, v12, v158                              // 000000006B00: 0B3D3D0C
	v_mul_f32_e32 v159, v12, v159                              // 000000006B04: 0B3F3F0C
	v_mul_f32_e32 v160, v12, v160                              // 000000006B08: 0B41410C
	v_mul_f32_e32 v161, v12, v161                              // 000000006B0C: 0B43430C
	s_waitcnt lgkmcnt(0)                                       // 000000006B10: BF8CC07F
	v_mfma_f32_16x16x32_bf16 v[34:37], a[144:147], v[26:29], v[34:37]// 000000006B14: D3B50022 0C8A3590
	v_mfma_f32_16x16x32_bf16 v[38:41], a[148:151], v[26:29], v[38:41]// 000000006B1C: D3B50026 0C9A3594
	v_mfma_f32_16x16x32_bf16 v[42:45], a[152:155], v[26:29], v[42:45]// 000000006B24: D3B5002A 0CAA3598
	v_mfma_f32_16x16x32_bf16 v[46:49], a[156:159], v[26:29], v[46:49]// 000000006B2C: D3B5002E 0CBA359C
	v_mfma_f32_16x16x32_bf16 v[50:53], a[160:163], v[26:29], v[50:53]// 000000006B34: D3B50032 0CCA35A0
	v_mfma_f32_16x16x32_bf16 v[54:57], a[164:167], v[26:29], v[54:57]// 000000006B3C: D3B50036 0CDA35A4
	v_mfma_f32_16x16x32_bf16 v[58:61], a[168:171], v[26:29], v[58:61]// 000000006B44: D3B5003A 0CEA35A8
	v_mfma_f32_16x16x32_bf16 v[62:65], a[172:175], v[26:29], v[62:65]// 000000006B4C: D3B5003E 0CFA35AC
	v_mfma_f32_16x16x32_bf16 v[66:69], a[176:179], v[26:29], v[66:69]// 000000006B54: D3B50042 0D0A35B0
	v_mfma_f32_16x16x32_bf16 v[70:73], a[180:183], v[26:29], v[70:73]// 000000006B5C: D3B50046 0D1A35B4
	v_mfma_f32_16x16x32_bf16 v[74:77], a[184:187], v[26:29], v[74:77]// 000000006B64: D3B5004A 0D2A35B8
	ds_read_b64_tr_b16 a[144:145], v6 offset:8192              // 000000006B6C: DBC62000 90000006
	ds_read_b64_tr_b16 a[146:147], v6 offset:8448              // 000000006B74: DBC62100 92000006
	ds_read_b64_tr_b16 a[148:149], v7 offset:8192              // 000000006B7C: DBC62000 94000007
	ds_read_b64_tr_b16 a[150:151], v7 offset:8448              // 000000006B84: DBC62100 96000007
	v_mfma_f32_16x16x32_bf16 v[78:81], a[188:191], v[26:29], v[78:81]// 000000006B8C: D3B5004E 0D3A35BC
	ds_read_b64_tr_b16 a[152:153], v6 offset:9216              // 000000006B94: DBC62400 98000006
	ds_read_b64_tr_b16 a[154:155], v6 offset:9472              // 000000006B9C: DBC62500 9A000006
	ds_read_b64_tr_b16 a[156:157], v7 offset:9216              // 000000006BA4: DBC62400 9C000007
	ds_read_b64_tr_b16 a[158:159], v7 offset:9472              // 000000006BAC: DBC62500 9E000007
	v_mfma_f32_16x16x32_bf16 v[82:85], a[192:195], v[26:29], v[82:85]// 000000006BB4: D3B50052 0D4A35C0
	ds_read_b64_tr_b16 a[160:161], v6 offset:10240             // 000000006BBC: DBC62800 A0000006
	ds_read_b64_tr_b16 a[162:163], v6 offset:10496             // 000000006BC4: DBC62900 A2000006
	ds_read_b64_tr_b16 a[164:165], v7 offset:10240             // 000000006BCC: DBC62800 A4000007
	ds_read_b64_tr_b16 a[166:167], v7 offset:10496             // 000000006BD4: DBC62900 A6000007
	v_mfma_f32_16x16x32_bf16 v[86:89], a[196:199], v[26:29], v[86:89]// 000000006BDC: D3B50056 0D5A35C4
	ds_read_b64_tr_b16 a[168:169], v6 offset:11264             // 000000006BE4: DBC62C00 A8000006
	ds_read_b64_tr_b16 a[170:171], v6 offset:11520             // 000000006BEC: DBC62D00 AA000006
	ds_read_b64_tr_b16 a[172:173], v7 offset:11264             // 000000006BF4: DBC62C00 AC000007
	ds_read_b64_tr_b16 a[174:175], v7 offset:11520             // 000000006BFC: DBC62D00 AE000007
	v_mfma_f32_16x16x32_bf16 v[90:93], a[200:203], v[26:29], v[90:93]// 000000006C04: D3B5005A 0D6A35C8
	ds_read_b64_tr_b16 a[176:177], v6 offset:12288             // 000000006C0C: DBC63000 B0000006
	ds_read_b64_tr_b16 a[178:179], v6 offset:12544             // 000000006C14: DBC63100 B2000006
	ds_read_b64_tr_b16 a[180:181], v7 offset:12288             // 000000006C1C: DBC63000 B4000007
	ds_read_b64_tr_b16 a[182:183], v7 offset:12544             // 000000006C24: DBC63100 B6000007
	v_mfma_f32_16x16x32_bf16 v[94:97], a[204:207], v[26:29], v[94:97]// 000000006C2C: D3B5005E 0D7A35CC
	ds_read_b64_tr_b16 a[184:185], v6 offset:13312             // 000000006C34: DBC63400 B8000006
	ds_read_b64_tr_b16 a[186:187], v6 offset:13568             // 000000006C3C: DBC63500 BA000006
	ds_read_b64_tr_b16 a[188:189], v7 offset:13312             // 000000006C44: DBC63400 BC000007
	ds_read_b64_tr_b16 a[190:191], v7 offset:13568             // 000000006C4C: DBC63500 BE000007
	ds_read_b64_tr_b16 a[192:193], v6 offset:14336             // 000000006C54: DBC63800 C0000006
	ds_read_b64_tr_b16 a[194:195], v6 offset:14592             // 000000006C5C: DBC63900 C2000006
	ds_read_b64_tr_b16 a[196:197], v7 offset:14336             // 000000006C64: DBC63800 C4000007
	ds_read_b64_tr_b16 a[198:199], v7 offset:14592             // 000000006C6C: DBC63900 C6000007
	ds_read_b64_tr_b16 a[200:201], v6 offset:15360             // 000000006C74: DBC63C00 C8000006
	ds_read_b64_tr_b16 a[202:203], v6 offset:15616             // 000000006C7C: DBC63D00 CA000006
	ds_read_b64_tr_b16 a[204:205], v7 offset:15360             // 000000006C84: DBC63C00 CC000007
	ds_read_b64_tr_b16 a[206:207], v7 offset:15616             // 000000006C8C: DBC63D00 CE000007
	s_waitcnt lgkmcnt(0)                                       // 000000006C94: BF8CC07F
	v_mfma_f32_16x16x32_bf16 v[98:101], a[144:147], v[26:29], v[98:101]// 000000006C98: D3B50062 0D8A3590
	v_mfma_f32_16x16x32_bf16 v[102:105], a[148:151], v[26:29], v[102:105]// 000000006CA0: D3B50066 0D9A3594
	v_mfma_f32_16x16x32_bf16 v[106:109], a[152:155], v[26:29], v[106:109]// 000000006CA8: D3B5006A 0DAA3598
	v_mfma_f32_16x16x32_bf16 v[110:113], a[156:159], v[26:29], v[110:113]// 000000006CB0: D3B5006E 0DBA359C
	v_mfma_f32_16x16x32_bf16 v[114:117], a[160:163], v[26:29], v[114:117]// 000000006CB8: D3B50072 0DCA35A0
	s_waitcnt vmcnt(10)                                        // 000000006CC0: BF8C0F7A
	s_barrier                                                  // 000000006CC4: BF8A0000
	ds_read_b128 a[72:75], v15                                 // 000000006CC8: DBFE0000 4800000F
	v_mfma_f32_16x16x32_bf16 v[118:121], a[164:167], v[26:29], v[118:121]// 000000006CD0: D3B50076 0DDA35A4
	ds_read_b128 a[76:79], v15 offset:1024                     // 000000006CD8: DBFE0400 4C00000F
	v_mfma_f32_16x16x32_bf16 v[122:125], a[168:171], v[26:29], v[122:125]// 000000006CE0: D3B5007A 0DEA35A8
	ds_read_b128 a[80:83], v15 offset:2048                     // 000000006CE8: DBFE0800 5000000F
	v_mfma_f32_16x16x32_bf16 v[126:129], a[172:175], v[26:29], v[126:129]// 000000006CF0: D3B5007E 0DFA35AC
	ds_read_b128 a[84:87], v15 offset:3072                     // 000000006CF8: DBFE0C00 5400000F
	v_mfma_f32_16x16x32_bf16 v[130:133], a[176:179], v[26:29], v[130:133]// 000000006D00: D3B50082 0E0A35B0
	ds_read_b128 a[88:91], v15 offset:4096                     // 000000006D08: DBFE1000 5800000F
	v_mfma_f32_16x16x32_bf16 v[134:137], a[180:183], v[26:29], v[134:137]// 000000006D10: D3B50086 0E1A35B4
	ds_read_b128 a[92:95], v15 offset:5120                     // 000000006D18: DBFE1400 5C00000F
	v_mfma_f32_16x16x32_bf16 v[138:141], a[184:187], v[26:29], v[138:141]// 000000006D20: D3B5008A 0E2A35B8
	ds_read_b128 a[96:99], v15 offset:6144                     // 000000006D28: DBFE1800 6000000F
	v_mfma_f32_16x16x32_bf16 v[142:145], a[188:191], v[26:29], v[142:145]// 000000006D30: D3B5008E 0E3A35BC
	ds_read_b128 a[100:103], v15 offset:7168                   // 000000006D38: DBFE1C00 6400000F
	v_mfma_f32_16x16x32_bf16 v[146:149], a[192:195], v[26:29], v[146:149]// 000000006D40: D3B50092 0E4A35C0
	ds_read_b128 a[104:107], v15 offset:8192                   // 000000006D48: DBFE2000 6800000F
	v_mfma_f32_16x16x32_bf16 v[150:153], a[196:199], v[26:29], v[150:153]// 000000006D50: D3B50096 0E5A35C4
	ds_read_b128 a[108:111], v15 offset:9216                   // 000000006D58: DBFE2400 6C00000F
	v_mfma_f32_16x16x32_bf16 v[154:157], a[200:203], v[26:29], v[154:157]// 000000006D60: D3B5009A 0E6A35C8
	ds_read_b128 a[112:115], v15 offset:10240                  // 000000006D68: DBFE2800 7000000F
	v_mfma_f32_16x16x32_bf16 v[158:161], a[204:207], v[26:29], v[158:161]// 000000006D70: D3B5009E 0E7A35CC
	ds_read_b128 a[116:119], v15 offset:11264                  // 000000006D78: DBFE2C00 7400000F
	ds_read_b128 a[120:123], v15 offset:12288                  // 000000006D80: DBFE3000 7800000F
	ds_read_b128 a[124:127], v15 offset:13312                  // 000000006D88: DBFE3400 7C00000F
	ds_read_b128 a[128:131], v15 offset:14336                  // 000000006D90: DBFE3800 8000000F
	ds_read_b128 a[132:135], v15 offset:15360                  // 000000006D98: DBFE3C00 8400000F
	ds_read_b128 a[136:139], v15 offset:16384                  // 000000006DA0: DBFE4000 8800000F
	ds_read_b128 a[140:143], v15 offset:17408                  // 000000006DA8: DBFE4400 8C00000F
	s_addk_i32 s70, 0x1                                        // 000000006DB0: B7460001
	s_cmp_lt_i32 s70, s71                                      // 000000006DB4: BF044746
	s_cbranch_scc0 label_2B6C                                  // 000000006DB8: BF84F82C
	s_branch label_2B78                                        // 000000006DBC: BF82F82E

0000000000006dc0 <label_4AC0>:
	s_cmp_eq_i32 s48, 0                                        // 000000006DC0: BF008030
	s_cbranch_scc1 label_6B5C                                  // 000000006DC4: BF8507A3

0000000000006dc8 <label_4AC8>:
	s_mov_b32 s37, 3                                           // 000000006DC8: BEA50083
	s_mov_b32 s36, s71                                         // 000000006DCC: BEA40047
	v_cvt_f32_u32_e32 v22, s37                                 // 000000006DD0: 7E2C0C25
	s_sub_i32 s56, 0, s37                                      // 000000006DD4: 81B82580
	v_rcp_iflag_f32_e32 v22, v22                               // 000000006DD8: 7E2C4716
	s_nop 0                                                    // 000000006DDC: BF800000
	v_mul_f32_e32 v22, 0x4f7ffffe, v22                         // 000000006DE0: 0A2C2CFF 4F7FFFFE
	v_cvt_u32_f32_e32 v22, v22                                 // 000000006DE8: 7E2C0F16
	v_mul_lo_u32 v23, s56, v22                                 // 000000006DEC: D2850017 00022C38
	v_mul_hi_u32 v23, v22, v23                                 // 000000006DF4: D2860017 00022F16
	v_add_u32_e32 v22, v22, v23                                // 000000006DFC: 682C2F16
	v_mul_hi_u32 v22, s36, v22                                 // 000000006E00: D2860016 00022C24
	v_mul_lo_u32 v23, v22, s37                                 // 000000006E08: D2850017 00004B16
	v_sub_u32_e32 v25, s36, v23                                // 000000006E10: 6A322E24
	v_add_u32_e32 v24, 1, v22                                  // 000000006E14: 68302C81
	v_cmp_le_u32_e32 vcc, s37, v25                             // 000000006E18: 7D963225
	v_subrev_u32_e32 v23, s37, v25                             // 000000006E1C: 6C2E3225
	s_nop 0                                                    // 000000006E20: BF800000
	v_cndmask_b32_e32 v22, v22, v24, vcc                       // 000000006E24: 002C3116
	v_cndmask_b32_e32 v25, v25, v23, vcc                       // 000000006E28: 00322F19
	v_add_u32_e32 v23, 1, v22                                  // 000000006E2C: 682E2C81
	v_cmp_le_u32_e32 vcc, s37, v25                             // 000000006E30: 7D963225
	s_nop 1                                                    // 000000006E34: BF800001
	v_cndmask_b32_e32 v25, v22, v23, vcc                       // 000000006E38: 00322F16
	s_nop 3                                                    // 000000006E3C: BF800003
	v_readfirstlane_b32 s38, v25                               // 000000006E40: 7E4C0519
	s_nop 3                                                    // 000000006E44: BF800003
	s_mul_i32 s56, s38, 3                                      // 000000006E48: 92388326
	s_sub_u32 s56, s71, s56                                    // 000000006E4C: 80B83847
	s_cmp_eq_i32 s56, 1                                        // 000000006E50: BF008138
	s_cbranch_scc1 label_5F58                                  // 000000006E54: BF850500
	s_cmp_eq_i32 s56, 0                                        // 000000006E58: BF008038
	s_cbranch_scc1 label_555C                                  // 000000006E5C: BF85027F
	s_waitcnt lgkmcnt(10)                                      // 000000006E60: BF8CCA7F
	v_mfma_f32_16x16x32_bf16 v[26:29], a[72:75], a[0:3], 0     // 000000006E64: D3B5001A 1A020148
	ds_read_b128 a[72:75], v14 offset:18432                    // 000000006E6C: DBFE4800 4800000E
	v_mfma_f32_16x16x32_bf16 v[26:29], a[76:79], a[4:7], v[26:29]// 000000006E74: D3B5001A 1C6A094C
	ds_read_b128 a[76:79], v14 offset:19456                    // 000000006E7C: DBFE4C00 4C00000E
	v_mfma_f32_16x16x32_bf16 v[26:29], a[80:83], a[8:11], v[26:29]// 000000006E84: D3B5001A 1C6A1150
	ds_read_b128 a[80:83], v14 offset:20480                    // 000000006E8C: DBFE5000 5000000E
	v_mfma_f32_16x16x32_bf16 v[26:29], a[84:87], a[12:15], v[26:29]// 000000006E94: D3B5001A 1C6A1954
	ds_read_b128 a[84:87], v14 offset:21504                    // 000000006E9C: DBFE5400 5400000E
	v_mfma_f32_16x16x32_bf16 v[26:29], a[88:91], a[16:19], v[26:29]// 000000006EA4: D3B5001A 1C6A2158
	ds_read_b128 a[88:91], v14 offset:22528                    // 000000006EAC: DBFE5800 5800000E
	v_mfma_f32_16x16x32_bf16 v[26:29], a[92:95], a[20:23], v[26:29]// 000000006EB4: D3B5001A 1C6A295C
	ds_read_b128 a[92:95], v14 offset:23552                    // 000000006EBC: DBFE5C00 5C00000E
	v_mfma_f32_16x16x32_bf16 v[26:29], a[96:99], a[24:27], v[26:29]// 000000006EC4: D3B5001A 1C6A3160
	ds_read_b128 a[96:99], v14 offset:24576                    // 000000006ECC: DBFE6000 6000000E
	v_mfma_f32_16x16x32_bf16 v[26:29], a[100:103], a[28:31], v[26:29]// 000000006ED4: D3B5001A 1C6A3964
	ds_read_b128 a[100:103], v14 offset:25600                  // 000000006EDC: DBFE6400 6400000E
	v_mfma_f32_16x16x32_bf16 v[26:29], a[104:107], a[32:35], v[26:29]// 000000006EE4: D3B5001A 1C6A4168
	ds_read_b128 a[104:107], v14 offset:26624                  // 000000006EEC: DBFE6800 6800000E
	v_mfma_f32_16x16x32_bf16 v[26:29], a[108:111], a[36:39], v[26:29]// 000000006EF4: D3B5001A 1C6A496C
	ds_read_b128 a[108:111], v14 offset:27648                  // 000000006EFC: DBFE6C00 6C00000E
	v_mfma_f32_16x16x32_bf16 v[26:29], a[112:115], a[40:43], v[26:29]// 000000006F04: D3B5001A 1C6A5170
	ds_read_b128 a[112:115], v14 offset:28672                  // 000000006F0C: DBFE7000 7000000E
	v_mfma_f32_16x16x32_bf16 v[26:29], a[116:119], a[44:47], v[26:29]// 000000006F14: D3B5001A 1C6A5974
	ds_read_b128 a[116:119], v14 offset:29696                  // 000000006F1C: DBFE7400 7400000E
	v_mfma_f32_16x16x32_bf16 v[26:29], a[120:123], a[48:51], v[26:29]// 000000006F24: D3B5001A 1C6A6178
	ds_read_b128 a[120:123], v14 offset:30720                  // 000000006F2C: DBFE7800 7800000E
	v_mfma_f32_16x16x32_bf16 v[26:29], a[124:127], a[52:55], v[26:29]// 000000006F34: D3B5001A 1C6A697C
	ds_read_b128 a[124:127], v14 offset:31744                  // 000000006F3C: DBFE7C00 7C00000E
	v_mfma_f32_16x16x32_bf16 v[26:29], a[128:131], a[56:59], v[26:29]// 000000006F44: D3B5001A 1C6A7180
	ds_read_b128 a[128:131], v14 offset:32768                  // 000000006F4C: DBFE8000 8000000E
	v_mfma_f32_16x16x32_bf16 v[26:29], a[132:135], a[60:63], v[26:29]// 000000006F54: D3B5001A 1C6A7984
	ds_read_b128 a[132:135], v14 offset:33792                  // 000000006F5C: DBFE8400 8400000E
	v_mfma_f32_16x16x32_bf16 v[26:29], a[136:139], a[64:67], v[26:29]// 000000006F64: D3B5001A 1C6A8188
	ds_read_b128 a[136:139], v14 offset:34816                  // 000000006F6C: DBFE8800 8800000E
	v_mfma_f32_16x16x32_bf16 v[26:29], a[140:143], a[68:71], v[26:29]// 000000006F74: D3B5001A 1C6A898C
	ds_read_b128 a[140:143], v14 offset:35840                  // 000000006F7C: DBFE8C00 8C00000E
	s_waitcnt lgkmcnt(10)                                      // 000000006F84: BF8CCA7F
	v_mfma_f32_16x16x32_bf16 v[30:33], a[72:75], a[0:3], 0     // 000000006F88: D3B5001E 1A020148
	ds_read_b64_tr_b16 a[144:145], v6                          // 000000006F90: DBC60000 90000006
	ds_read_b64_tr_b16 a[146:147], v6 offset:256               // 000000006F98: DBC60100 92000006
	ds_read_b64_tr_b16 a[148:149], v7                          // 000000006FA0: DBC60000 94000007
	ds_read_b64_tr_b16 a[150:151], v7 offset:256               // 000000006FA8: DBC60100 96000007
	v_mfma_f32_16x16x32_bf16 v[30:33], a[76:79], a[4:7], v[30:33]// 000000006FB0: D3B5001E 1C7A094C
	ds_read_b64_tr_b16 a[152:153], v6 offset:1024              // 000000006FB8: DBC60400 98000006
	ds_read_b64_tr_b16 a[154:155], v6 offset:1280              // 000000006FC0: DBC60500 9A000006
	ds_read_b64_tr_b16 a[156:157], v7 offset:1024              // 000000006FC8: DBC60400 9C000007
	ds_read_b64_tr_b16 a[158:159], v7 offset:1280              // 000000006FD0: DBC60500 9E000007
	v_mfma_f32_16x16x32_bf16 v[30:33], a[80:83], a[8:11], v[30:33]// 000000006FD8: D3B5001E 1C7A1150
	ds_read_b64_tr_b16 a[160:161], v6 offset:2048              // 000000006FE0: DBC60800 A0000006
	ds_read_b64_tr_b16 a[162:163], v6 offset:2304              // 000000006FE8: DBC60900 A2000006
	ds_read_b64_tr_b16 a[164:165], v7 offset:2048              // 000000006FF0: DBC60800 A4000007
	ds_read_b64_tr_b16 a[166:167], v7 offset:2304              // 000000006FF8: DBC60900 A6000007
	v_mfma_f32_16x16x32_bf16 v[30:33], a[84:87], a[12:15], v[30:33]// 000000007000: D3B5001E 1C7A1954
	ds_read_b64_tr_b16 a[168:169], v6 offset:3072              // 000000007008: DBC60C00 A8000006
	ds_read_b64_tr_b16 a[170:171], v6 offset:3328              // 000000007010: DBC60D00 AA000006
	ds_read_b64_tr_b16 a[172:173], v7 offset:3072              // 000000007018: DBC60C00 AC000007
	ds_read_b64_tr_b16 a[174:175], v7 offset:3328              // 000000007020: DBC60D00 AE000007
	v_mfma_f32_16x16x32_bf16 v[30:33], a[88:91], a[16:19], v[30:33]// 000000007028: D3B5001E 1C7A2158
	ds_read_b64_tr_b16 a[176:177], v6 offset:4096              // 000000007030: DBC61000 B0000006
	ds_read_b64_tr_b16 a[178:179], v6 offset:4352              // 000000007038: DBC61100 B2000006
	ds_read_b64_tr_b16 a[180:181], v7 offset:4096              // 000000007040: DBC61000 B4000007
	ds_read_b64_tr_b16 a[182:183], v7 offset:4352              // 000000007048: DBC61100 B6000007
	v_mfma_f32_16x16x32_bf16 v[30:33], a[92:95], a[20:23], v[30:33]// 000000007050: D3B5001E 1C7A295C
	ds_read_b64_tr_b16 a[184:185], v6 offset:5120              // 000000007058: DBC61400 B8000006
	ds_read_b64_tr_b16 a[186:187], v6 offset:5376              // 000000007060: DBC61500 BA000006
	ds_read_b64_tr_b16 a[188:189], v7 offset:5120              // 000000007068: DBC61400 BC000007
	ds_read_b64_tr_b16 a[190:191], v7 offset:5376              // 000000007070: DBC61500 BE000007
	v_mfma_f32_16x16x32_bf16 v[30:33], a[96:99], a[24:27], v[30:33]// 000000007078: D3B5001E 1C7A3160
	ds_read_b64_tr_b16 a[192:193], v6 offset:6144              // 000000007080: DBC61800 C0000006
	ds_read_b64_tr_b16 a[194:195], v6 offset:6400              // 000000007088: DBC61900 C2000006
	ds_read_b64_tr_b16 a[196:197], v7 offset:6144              // 000000007090: DBC61800 C4000007
	ds_read_b64_tr_b16 a[198:199], v7 offset:6400              // 000000007098: DBC61900 C6000007
	v_mfma_f32_16x16x32_bf16 v[30:33], a[100:103], a[28:31], v[30:33]// 0000000070A0: D3B5001E 1C7A3964
	ds_read_b64_tr_b16 a[200:201], v6 offset:7168              // 0000000070A8: DBC61C00 C8000006
	ds_read_b64_tr_b16 a[202:203], v6 offset:7424              // 0000000070B0: DBC61D00 CA000006
	ds_read_b64_tr_b16 a[204:205], v7 offset:7168              // 0000000070B8: DBC61C00 CC000007
	ds_read_b64_tr_b16 a[206:207], v7 offset:7424              // 0000000070C0: DBC61D00 CE000007
	v_mfma_f32_16x16x32_bf16 v[30:33], a[104:107], a[32:35], v[30:33]// 0000000070C8: D3B5001E 1C7A4168
	v_mfma_f32_16x16x32_bf16 v[30:33], a[108:111], a[36:39], v[30:33]// 0000000070D0: D3B5001E 1C7A496C
	v_mfma_f32_16x16x32_bf16 v[30:33], a[112:115], a[40:43], v[30:33]// 0000000070D8: D3B5001E 1C7A5170
	v_mfma_f32_16x16x32_bf16 v[30:33], a[116:119], a[44:47], v[30:33]// 0000000070E0: D3B5001E 1C7A5974
	v_mfma_f32_16x16x32_bf16 v[30:33], a[120:123], a[48:51], v[30:33]// 0000000070E8: D3B5001E 1C7A6178
	v_mfma_f32_16x16x32_bf16 v[30:33], a[124:127], a[52:55], v[30:33]// 0000000070F0: D3B5001E 1C7A697C
	v_mfma_f32_16x16x32_bf16 v[30:33], a[128:131], a[56:59], v[30:33]// 0000000070F8: D3B5001E 1C7A7180
	v_mfma_f32_16x16x32_bf16 v[30:33], a[132:135], a[60:63], v[30:33]// 000000007100: D3B5001E 1C7A7984
	v_mfma_f32_16x16x32_bf16 v[30:33], a[136:139], a[64:67], v[30:33]// 000000007108: D3B5001E 1C7A8188
	v_mfma_f32_16x16x32_bf16 v[30:33], a[140:143], a[68:71], v[30:33]// 000000007110: D3B5001E 1C7A898C
	s_nop 8                                                    // 000000007118: BF800008
	s_and_b32 s56, s48, 0xff                                   // 00000000711C: 8638FF30 000000FF
	v_mov_b32_e32 v23, s56                                     // 000000007124: 7E2E0238
	v_lshrrev_b32_e32 v162, 4, v0                              // 000000007128: 21440084
	v_mul_i32_i24_e32 v162, 4, v162                            // 00000000712C: 0D454484
	v_add_u32_e32 v163, 1, v162                                // 000000007130: 69474481
	v_add_u32_e32 v164, 2, v162                                // 000000007134: 69494482
	v_add_u32_e32 v165, 3, v162                                // 000000007138: 694B4483
	v_mov_b32_e32 v22, 0xff800000                              // 00000000713C: 7E2C02FF FF800000
	v_cmp_lt_u32_e64 s[36:37], v162, v23                       // 000000007144: D0C90024 00022FA2
	v_add_u32_e32 v162, 16, v162                               // 00000000714C: 69454490
	s_nop 0                                                    // 000000007150: BF800000
	v_cndmask_b32_e64 v26, v22, v26, s[36:37]                  // 000000007154: D100001A 00923516
	v_cmp_lt_u32_e64 s[36:37], v163, v23                       // 00000000715C: D0C90024 00022FA3
	v_add_u32_e32 v163, 16, v163                               // 000000007164: 69474690
	s_nop 0                                                    // 000000007168: BF800000
	v_cndmask_b32_e64 v27, v22, v27, s[36:37]                  // 00000000716C: D100001B 00923716
	v_cmp_lt_u32_e64 s[36:37], v164, v23                       // 000000007174: D0C90024 00022FA4
	v_add_u32_e32 v164, 16, v164                               // 00000000717C: 69494890
	s_nop 0                                                    // 000000007180: BF800000
	v_cndmask_b32_e64 v28, v22, v28, s[36:37]                  // 000000007184: D100001C 00923916
	v_cmp_lt_u32_e64 s[36:37], v165, v23                       // 00000000718C: D0C90024 00022FA5
	v_add_u32_e32 v165, 16, v165                               // 000000007194: 694B4A90
	s_nop 0                                                    // 000000007198: BF800000
	v_cndmask_b32_e64 v29, v22, v29, s[36:37]                  // 00000000719C: D100001D 00923B16
	v_cmp_lt_u32_e64 s[36:37], v162, v23                       // 0000000071A4: D0C90024 00022FA2
	v_add_u32_e32 v162, 16, v162                               // 0000000071AC: 69454490
	s_nop 0                                                    // 0000000071B0: BF800000
	v_cndmask_b32_e64 v30, v22, v30, s[36:37]                  // 0000000071B4: D100001E 00923D16
	v_cmp_lt_u32_e64 s[36:37], v163, v23                       // 0000000071BC: D0C90024 00022FA3
	v_add_u32_e32 v163, 16, v163                               // 0000000071C4: 69474690
	s_nop 0                                                    // 0000000071C8: BF800000
	v_cndmask_b32_e64 v31, v22, v31, s[36:37]                  // 0000000071CC: D100001F 00923F16
	v_cmp_lt_u32_e64 s[36:37], v164, v23                       // 0000000071D4: D0C90024 00022FA4
	v_add_u32_e32 v164, 16, v164                               // 0000000071DC: 69494890
	s_nop 0                                                    // 0000000071E0: BF800000
	v_cndmask_b32_e64 v32, v22, v32, s[36:37]                  // 0000000071E4: D1000020 00924116
	v_cmp_lt_u32_e64 s[36:37], v165, v23                       // 0000000071EC: D0C90024 00022FA5
	v_add_u32_e32 v165, 16, v165                               // 0000000071F4: 694B4A90
	s_nop 0                                                    // 0000000071F8: BF800000
	v_cndmask_b32_e64 v33, v22, v33, s[36:37]                  // 0000000071FC: D1000021 00924316
	s_cmp_le_i32 s83, s82                                      // 000000007204: BF055253
	s_cbranch_scc1 label_5000                                  // 000000007208: BF85003D
	v_mov_b32_e32 v22, s82                                     // 00000000720C: 7E2C0252
	s_sub_u32 s58, s81, s80                                    // 000000007210: 80BA5051
	s_add_u32 s58, s58, s7                                     // 000000007214: 803A073A
	v_add_u32_e32 v22, s58, v22                                // 000000007218: 682C2C3A
	s_sub_u32 s56, s83, 31                                     // 00000000721C: 80B89F53
	v_lshrrev_b32_e32 v162, 4, v0                              // 000000007220: 21440084
	v_mul_i32_i24_e32 v162, 4, v162                            // 000000007224: 0D454484
	v_add_u32_e32 v162, s56, v162                              // 000000007228: 69454438
	v_add_u32_e32 v163, 1, v162                                // 00000000722C: 69474481
	v_add_u32_e32 v164, 2, v162                                // 000000007230: 69494482
	v_add_u32_e32 v165, 3, v162                                // 000000007234: 694B4483
	v_mov_b32_e32 v23, 0xff800000                              // 000000007238: 7E2E02FF FF800000
	v_cmp_le_u32_e64 s[36:37], v162, v22                       // 000000007240: D0CB0024 00022DA2
	v_add_u32_e32 v162, 16, v162                               // 000000007248: 69454490
	s_nop 0                                                    // 00000000724C: BF800000
	v_cndmask_b32_e64 v26, v23, v26, s[36:37]                  // 000000007250: D100001A 00923517
	v_cmp_le_u32_e64 s[36:37], v163, v22                       // 000000007258: D0CB0024 00022DA3
	v_add_u32_e32 v163, 16, v163                               // 000000007260: 69474690
	s_nop 0                                                    // 000000007264: BF800000
	v_cndmask_b32_e64 v27, v23, v27, s[36:37]                  // 000000007268: D100001B 00923717
	v_cmp_le_u32_e64 s[36:37], v164, v22                       // 000000007270: D0CB0024 00022DA4
	v_add_u32_e32 v164, 16, v164                               // 000000007278: 69494890
	s_nop 0                                                    // 00000000727C: BF800000
	v_cndmask_b32_e64 v28, v23, v28, s[36:37]                  // 000000007280: D100001C 00923917
	v_cmp_le_u32_e64 s[36:37], v165, v22                       // 000000007288: D0CB0024 00022DA5
	v_add_u32_e32 v165, 16, v165                               // 000000007290: 694B4A90
	s_nop 0                                                    // 000000007294: BF800000
	v_cndmask_b32_e64 v29, v23, v29, s[36:37]                  // 000000007298: D100001D 00923B17
	v_cmp_le_u32_e64 s[36:37], v162, v22                       // 0000000072A0: D0CB0024 00022DA2
	v_add_u32_e32 v162, 16, v162                               // 0000000072A8: 69454490
	s_nop 0                                                    // 0000000072AC: BF800000
	v_cndmask_b32_e64 v30, v23, v30, s[36:37]                  // 0000000072B0: D100001E 00923D17
	v_cmp_le_u32_e64 s[36:37], v163, v22                       // 0000000072B8: D0CB0024 00022DA3
	v_add_u32_e32 v163, 16, v163                               // 0000000072C0: 69474690
	s_nop 0                                                    // 0000000072C4: BF800000
	v_cndmask_b32_e64 v31, v23, v31, s[36:37]                  // 0000000072C8: D100001F 00923F17
	v_cmp_le_u32_e64 s[36:37], v164, v22                       // 0000000072D0: D0CB0024 00022DA4
	v_add_u32_e32 v164, 16, v164                               // 0000000072D8: 69494890
	s_nop 0                                                    // 0000000072DC: BF800000
	v_cndmask_b32_e64 v32, v23, v32, s[36:37]                  // 0000000072E0: D1000020 00924117
	v_cmp_le_u32_e64 s[36:37], v165, v22                       // 0000000072E8: D0CB0024 00022DA5
	v_add_u32_e32 v165, 16, v165                               // 0000000072F0: 694B4A90
	s_nop 0                                                    // 0000000072F4: BF800000
	v_cndmask_b32_e64 v33, v23, v33, s[36:37]                  // 0000000072F8: D1000021 00924317

0000000000007300 <label_5000>:
	s_add_u32 s83, s84, s83                                    // 000000007300: 80535354
	s_nop 2                                                    // 000000007304: BF800002
	v_mov_b32_e32 v23, v26                                     // 000000007308: 7E2E031A
	v_max3_f32 v23, v26, v27, v23                              // 00000000730C: D1D30017 045E371A
	v_max3_f32 v23, v28, v29, v23                              // 000000007314: D1D30017 045E3B1C
	v_max3_f32 v23, v30, v31, v23                              // 00000000731C: D1D30017 045E3F1E
	v_max3_f32 v23, v32, v33, v23                              // 000000007324: D1D30017 045E4320
	v_mov_b32_e32 v22, v23                                     // 00000000732C: 7E2C0317
	v_mov_b32_e32 v23, v23                                     // 000000007330: 7E2E0317
	s_nop 1                                                    // 000000007334: BF800001
	v_permlane16_swap_b32_e32 v22, v23                         // 000000007338: 7E2CB317
	v_mov_b32_e32 v25, v22                                     // 00000000733C: 7E320316
	v_mov_b32_e32 v24, v23                                     // 000000007340: 7E300317
	s_nop 1                                                    // 000000007344: BF800001
	v_permlane32_swap_b32_e32 v22, v23                         // 000000007348: 7E2CB517
	v_permlane32_swap_b32_e32 v24, v25                         // 00000000734C: 7E30B519
	v_max3_f32 v23, v22, v23, v23                              // 000000007350: D1D30017 045E2F16
	v_max3_f32 v23, v24, v25, v23                              // 000000007358: D1D30017 045E3318
	v_mov_b32_e32 v22, 0xff800000                              // 000000007360: 7E2C02FF FF800000
	v_cmp_eq_u32_e64 s[36:37], v22, v2                         // 000000007368: D0CA0024 00020516
	v_max_f32_e32 v23, v23, v2                                 // 000000007370: 162E0517
	v_sub_f32_e32 v12, v2, v23                                 // 000000007374: 04182F02
	v_cndmask_b32_e64 v12, v12, 0, s[36:37]                    // 000000007378: D100000C 0091010C
	v_mov_b32_e32 v2, v23                                      // 000000007380: 7E040317
	v_mul_f32_e32 v23, s5, v23                                 // 000000007384: 0A2E2E05
	v_mul_f32_e32 v12, s5, v12                                 // 000000007388: 0A181805
	v_exp_f32_e32 v12, v12                                     // 00000000738C: 7E18410C
	v_fma_f32 v26, v26, s5, -v23                               // 000000007390: D1CB001A 845C0B1A
	v_fma_f32 v27, v27, s5, -v23                               // 000000007398: D1CB001B 845C0B1B
	v_fma_f32 v28, v28, s5, -v23                               // 0000000073A0: D1CB001C 845C0B1C
	v_fma_f32 v29, v29, s5, -v23                               // 0000000073A8: D1CB001D 845C0B1D
	v_fma_f32 v30, v30, s5, -v23                               // 0000000073B0: D1CB001E 845C0B1E
	v_fma_f32 v31, v31, s5, -v23                               // 0000000073B8: D1CB001F 845C0B1F
	v_fma_f32 v32, v32, s5, -v23                               // 0000000073C0: D1CB0020 845C0B20
	v_fma_f32 v33, v33, s5, -v23                               // 0000000073C8: D1CB0021 845C0B21
	v_exp_f32_e32 v26, v26                                     // 0000000073D0: 7E34411A
	v_exp_f32_e32 v27, v27                                     // 0000000073D4: 7E36411B
	v_exp_f32_e32 v28, v28                                     // 0000000073D8: 7E38411C
	v_exp_f32_e32 v29, v29                                     // 0000000073DC: 7E3A411D
	v_exp_f32_e32 v30, v30                                     // 0000000073E0: 7E3C411E
	v_exp_f32_e32 v31, v31                                     // 0000000073E4: 7E3E411F
	v_exp_f32_e32 v32, v32                                     // 0000000073E8: 7E404120
	v_exp_f32_e32 v33, v33                                     // 0000000073EC: 7E424121
	v_mul_f32_e32 v4, v12, v4                                  // 0000000073F0: 0A08090C
	v_mov_b32_e32 v22, v26                                     // 0000000073F4: 7E2C031A
	v_add_f32_e32 v22, v27, v22                                // 0000000073F8: 022C2D1B
	v_add_f32_e32 v22, v28, v22                                // 0000000073FC: 022C2D1C
	v_add_f32_e32 v22, v29, v22                                // 000000007400: 022C2D1D
	v_add_f32_e32 v22, v30, v22                                // 000000007404: 022C2D1E
	v_add_f32_e32 v22, v31, v22                                // 000000007408: 022C2D1F
	v_add_f32_e32 v22, v32, v22                                // 00000000740C: 022C2D20
	v_add_f32_e32 v22, v33, v22                                // 000000007410: 022C2D21
	v_add_f32_e32 v4, v22, v4                                  // 000000007414: 02080916
	v_cvt_pk_bf16_f32 v26, v26, v27                            // 000000007418: D268001A 0002371A
	v_cvt_pk_bf16_f32 v27, v28, v29                            // 000000007420: D268001B 00023B1C
	v_cvt_pk_bf16_f32 v28, v30, v31                            // 000000007428: D268001C 00023F1E
	v_cvt_pk_bf16_f32 v29, v32, v33                            // 000000007430: D268001D 00024320
	s_nop 0                                                    // 000000007438: BF800000
	v_permlane32_swap_b32_e32 v26, v28                         // 00000000743C: 7E34B51C
	v_permlane32_swap_b32_e32 v27, v29                         // 000000007440: 7E36B51D
	s_nop 0                                                    // 000000007444: BF800000
	v_permlane16_swap_b32_e32 v26, v28                         // 000000007448: 7E34B31C
	v_permlane16_swap_b32_e32 v27, v29                         // 00000000744C: 7E36B31D
	v_mul_f32_e32 v34, v12, v34                                // 000000007450: 0A44450C
	v_mul_f32_e32 v35, v12, v35                                // 000000007454: 0A46470C
	v_mul_f32_e32 v36, v12, v36                                // 000000007458: 0A48490C
	v_mul_f32_e32 v37, v12, v37                                // 00000000745C: 0A4A4B0C
	v_mul_f32_e32 v38, v12, v38                                // 000000007460: 0A4C4D0C
	v_mul_f32_e32 v39, v12, v39                                // 000000007464: 0A4E4F0C
	v_mul_f32_e32 v40, v12, v40                                // 000000007468: 0A50510C
	v_mul_f32_e32 v41, v12, v41                                // 00000000746C: 0A52530C
	v_mul_f32_e32 v42, v12, v42                                // 000000007470: 0A54550C
	v_mul_f32_e32 v43, v12, v43                                // 000000007474: 0A56570C
	v_mul_f32_e32 v44, v12, v44                                // 000000007478: 0A58590C
	v_mul_f32_e32 v45, v12, v45                                // 00000000747C: 0A5A5B0C
	v_mul_f32_e32 v46, v12, v46                                // 000000007480: 0A5C5D0C
	v_mul_f32_e32 v47, v12, v47                                // 000000007484: 0A5E5F0C
	v_mul_f32_e32 v48, v12, v48                                // 000000007488: 0A60610C
	v_mul_f32_e32 v49, v12, v49                                // 00000000748C: 0A62630C
	v_mul_f32_e32 v50, v12, v50                                // 000000007490: 0A64650C
	v_mul_f32_e32 v51, v12, v51                                // 000000007494: 0A66670C
	v_mul_f32_e32 v52, v12, v52                                // 000000007498: 0A68690C
	v_mul_f32_e32 v53, v12, v53                                // 00000000749C: 0A6A6B0C
	v_mul_f32_e32 v54, v12, v54                                // 0000000074A0: 0A6C6D0C
	v_mul_f32_e32 v55, v12, v55                                // 0000000074A4: 0A6E6F0C
	v_mul_f32_e32 v56, v12, v56                                // 0000000074A8: 0A70710C
	v_mul_f32_e32 v57, v12, v57                                // 0000000074AC: 0A72730C
	v_mul_f32_e32 v58, v12, v58                                // 0000000074B0: 0A74750C
	v_mul_f32_e32 v59, v12, v59                                // 0000000074B4: 0A76770C
	v_mul_f32_e32 v60, v12, v60                                // 0000000074B8: 0A78790C
	v_mul_f32_e32 v61, v12, v61                                // 0000000074BC: 0A7A7B0C
	v_mul_f32_e32 v62, v12, v62                                // 0000000074C0: 0A7C7D0C
	v_mul_f32_e32 v63, v12, v63                                // 0000000074C4: 0A7E7F0C
	v_mul_f32_e32 v64, v12, v64                                // 0000000074C8: 0A80810C
	v_mul_f32_e32 v65, v12, v65                                // 0000000074CC: 0A82830C
	v_mul_f32_e32 v66, v12, v66                                // 0000000074D0: 0A84850C
	v_mul_f32_e32 v67, v12, v67                                // 0000000074D4: 0A86870C
	v_mul_f32_e32 v68, v12, v68                                // 0000000074D8: 0A88890C
	v_mul_f32_e32 v69, v12, v69                                // 0000000074DC: 0A8A8B0C
	v_mul_f32_e32 v70, v12, v70                                // 0000000074E0: 0A8C8D0C
	v_mul_f32_e32 v71, v12, v71                                // 0000000074E4: 0A8E8F0C
	v_mul_f32_e32 v72, v12, v72                                // 0000000074E8: 0A90910C
	v_mul_f32_e32 v73, v12, v73                                // 0000000074EC: 0A92930C
	v_mul_f32_e32 v74, v12, v74                                // 0000000074F0: 0A94950C
	v_mul_f32_e32 v75, v12, v75                                // 0000000074F4: 0A96970C
	v_mul_f32_e32 v76, v12, v76                                // 0000000074F8: 0A98990C
	v_mul_f32_e32 v77, v12, v77                                // 0000000074FC: 0A9A9B0C
	v_mul_f32_e32 v78, v12, v78                                // 000000007500: 0A9C9D0C
	v_mul_f32_e32 v79, v12, v79                                // 000000007504: 0A9E9F0C
	v_mul_f32_e32 v80, v12, v80                                // 000000007508: 0AA0A10C
	v_mul_f32_e32 v81, v12, v81                                // 00000000750C: 0AA2A30C
	v_mul_f32_e32 v82, v12, v82                                // 000000007510: 0AA4A50C
	v_mul_f32_e32 v83, v12, v83                                // 000000007514: 0AA6A70C
	v_mul_f32_e32 v84, v12, v84                                // 000000007518: 0AA8A90C
	v_mul_f32_e32 v85, v12, v85                                // 00000000751C: 0AAAAB0C
	v_mul_f32_e32 v86, v12, v86                                // 000000007520: 0AACAD0C
	v_mul_f32_e32 v87, v12, v87                                // 000000007524: 0AAEAF0C
	v_mul_f32_e32 v88, v12, v88                                // 000000007528: 0AB0B10C
	v_mul_f32_e32 v89, v12, v89                                // 00000000752C: 0AB2B30C
	v_mul_f32_e32 v90, v12, v90                                // 000000007530: 0AB4B50C
	v_mul_f32_e32 v91, v12, v91                                // 000000007534: 0AB6B70C
	v_mul_f32_e32 v92, v12, v92                                // 000000007538: 0AB8B90C
	v_mul_f32_e32 v93, v12, v93                                // 00000000753C: 0ABABB0C
	v_mul_f32_e32 v94, v12, v94                                // 000000007540: 0ABCBD0C
	v_mul_f32_e32 v95, v12, v95                                // 000000007544: 0ABEBF0C
	v_mul_f32_e32 v96, v12, v96                                // 000000007548: 0AC0C10C
	v_mul_f32_e32 v97, v12, v97                                // 00000000754C: 0AC2C30C
	v_mul_f32_e32 v98, v12, v98                                // 000000007550: 0AC4C50C
	v_mul_f32_e32 v99, v12, v99                                // 000000007554: 0AC6C70C
	v_mul_f32_e32 v100, v12, v100                              // 000000007558: 0AC8C90C
	v_mul_f32_e32 v101, v12, v101                              // 00000000755C: 0ACACB0C
	v_mul_f32_e32 v102, v12, v102                              // 000000007560: 0ACCCD0C
	v_mul_f32_e32 v103, v12, v103                              // 000000007564: 0ACECF0C
	v_mul_f32_e32 v104, v12, v104                              // 000000007568: 0AD0D10C
	v_mul_f32_e32 v105, v12, v105                              // 00000000756C: 0AD2D30C
	v_mul_f32_e32 v106, v12, v106                              // 000000007570: 0AD4D50C
	v_mul_f32_e32 v107, v12, v107                              // 000000007574: 0AD6D70C
	v_mul_f32_e32 v108, v12, v108                              // 000000007578: 0AD8D90C
	v_mul_f32_e32 v109, v12, v109                              // 00000000757C: 0ADADB0C
	v_mul_f32_e32 v110, v12, v110                              // 000000007580: 0ADCDD0C
	v_mul_f32_e32 v111, v12, v111                              // 000000007584: 0ADEDF0C
	v_mul_f32_e32 v112, v12, v112                              // 000000007588: 0AE0E10C
	v_mul_f32_e32 v113, v12, v113                              // 00000000758C: 0AE2E30C
	v_mul_f32_e32 v114, v12, v114                              // 000000007590: 0AE4E50C
	v_mul_f32_e32 v115, v12, v115                              // 000000007594: 0AE6E70C
	v_mul_f32_e32 v116, v12, v116                              // 000000007598: 0AE8E90C
	v_mul_f32_e32 v117, v12, v117                              // 00000000759C: 0AEAEB0C
	v_mul_f32_e32 v118, v12, v118                              // 0000000075A0: 0AECED0C
	v_mul_f32_e32 v119, v12, v119                              // 0000000075A4: 0AEEEF0C
	v_mul_f32_e32 v120, v12, v120                              // 0000000075A8: 0AF0F10C
	v_mul_f32_e32 v121, v12, v121                              // 0000000075AC: 0AF2F30C
	v_mul_f32_e32 v122, v12, v122                              // 0000000075B0: 0AF4F50C
	v_mul_f32_e32 v123, v12, v123                              // 0000000075B4: 0AF6F70C
	v_mul_f32_e32 v124, v12, v124                              // 0000000075B8: 0AF8F90C
	v_mul_f32_e32 v125, v12, v125                              // 0000000075BC: 0AFAFB0C
	v_mul_f32_e32 v126, v12, v126                              // 0000000075C0: 0AFCFD0C
	v_mul_f32_e32 v127, v12, v127                              // 0000000075C4: 0AFEFF0C
	v_mul_f32_e32 v128, v12, v128                              // 0000000075C8: 0B01010C
	v_mul_f32_e32 v129, v12, v129                              // 0000000075CC: 0B03030C
	v_mul_f32_e32 v130, v12, v130                              // 0000000075D0: 0B05050C
	v_mul_f32_e32 v131, v12, v131                              // 0000000075D4: 0B07070C
	v_mul_f32_e32 v132, v12, v132                              // 0000000075D8: 0B09090C
	v_mul_f32_e32 v133, v12, v133                              // 0000000075DC: 0B0B0B0C
	v_mul_f32_e32 v134, v12, v134                              // 0000000075E0: 0B0D0D0C
	v_mul_f32_e32 v135, v12, v135                              // 0000000075E4: 0B0F0F0C
	v_mul_f32_e32 v136, v12, v136                              // 0000000075E8: 0B11110C
	v_mul_f32_e32 v137, v12, v137                              // 0000000075EC: 0B13130C
	v_mul_f32_e32 v138, v12, v138                              // 0000000075F0: 0B15150C
	v_mul_f32_e32 v139, v12, v139                              // 0000000075F4: 0B17170C
	v_mul_f32_e32 v140, v12, v140                              // 0000000075F8: 0B19190C
	v_mul_f32_e32 v141, v12, v141                              // 0000000075FC: 0B1B1B0C
	v_mul_f32_e32 v142, v12, v142                              // 000000007600: 0B1D1D0C
	v_mul_f32_e32 v143, v12, v143                              // 000000007604: 0B1F1F0C
	v_mul_f32_e32 v144, v12, v144                              // 000000007608: 0B21210C
	v_mul_f32_e32 v145, v12, v145                              // 00000000760C: 0B23230C
	v_mul_f32_e32 v146, v12, v146                              // 000000007610: 0B25250C
	v_mul_f32_e32 v147, v12, v147                              // 000000007614: 0B27270C
	v_mul_f32_e32 v148, v12, v148                              // 000000007618: 0B29290C
	v_mul_f32_e32 v149, v12, v149                              // 00000000761C: 0B2B2B0C
	v_mul_f32_e32 v150, v12, v150                              // 000000007620: 0B2D2D0C
	v_mul_f32_e32 v151, v12, v151                              // 000000007624: 0B2F2F0C
	v_mul_f32_e32 v152, v12, v152                              // 000000007628: 0B31310C
	v_mul_f32_e32 v153, v12, v153                              // 00000000762C: 0B33330C
	v_mul_f32_e32 v154, v12, v154                              // 000000007630: 0B35350C
	v_mul_f32_e32 v155, v12, v155                              // 000000007634: 0B37370C
	v_mul_f32_e32 v156, v12, v156                              // 000000007638: 0B39390C
	v_mul_f32_e32 v157, v12, v157                              // 00000000763C: 0B3B3B0C
	v_mul_f32_e32 v158, v12, v158                              // 000000007640: 0B3D3D0C
	v_mul_f32_e32 v159, v12, v159                              // 000000007644: 0B3F3F0C
	v_mul_f32_e32 v160, v12, v160                              // 000000007648: 0B41410C
	v_mul_f32_e32 v161, v12, v161                              // 00000000764C: 0B43430C
	v_mfma_f32_16x16x32_bf16 v[34:37], a[144:147], v[26:29], v[34:37]// 000000007650: D3B50022 0C8A3590
	v_mfma_f32_16x16x32_bf16 v[38:41], a[148:151], v[26:29], v[38:41]// 000000007658: D3B50026 0C9A3594
	v_mfma_f32_16x16x32_bf16 v[42:45], a[152:155], v[26:29], v[42:45]// 000000007660: D3B5002A 0CAA3598
	v_mfma_f32_16x16x32_bf16 v[46:49], a[156:159], v[26:29], v[46:49]// 000000007668: D3B5002E 0CBA359C
	v_mfma_f32_16x16x32_bf16 v[50:53], a[160:163], v[26:29], v[50:53]// 000000007670: D3B50032 0CCA35A0
	v_mfma_f32_16x16x32_bf16 v[54:57], a[164:167], v[26:29], v[54:57]// 000000007678: D3B50036 0CDA35A4
	v_mfma_f32_16x16x32_bf16 v[58:61], a[168:171], v[26:29], v[58:61]// 000000007680: D3B5003A 0CEA35A8
	v_mfma_f32_16x16x32_bf16 v[62:65], a[172:175], v[26:29], v[62:65]// 000000007688: D3B5003E 0CFA35AC
	v_mfma_f32_16x16x32_bf16 v[66:69], a[176:179], v[26:29], v[66:69]// 000000007690: D3B50042 0D0A35B0
	v_mfma_f32_16x16x32_bf16 v[70:73], a[180:183], v[26:29], v[70:73]// 000000007698: D3B50046 0D1A35B4
	v_mfma_f32_16x16x32_bf16 v[74:77], a[184:187], v[26:29], v[74:77]// 0000000076A0: D3B5004A 0D2A35B8
	ds_read_b64_tr_b16 a[144:145], v6 offset:8192              // 0000000076A8: DBC62000 90000006
	ds_read_b64_tr_b16 a[146:147], v6 offset:8448              // 0000000076B0: DBC62100 92000006
	ds_read_b64_tr_b16 a[148:149], v7 offset:8192              // 0000000076B8: DBC62000 94000007
	ds_read_b64_tr_b16 a[150:151], v7 offset:8448              // 0000000076C0: DBC62100 96000007
	v_mfma_f32_16x16x32_bf16 v[78:81], a[188:191], v[26:29], v[78:81]// 0000000076C8: D3B5004E 0D3A35BC
	ds_read_b64_tr_b16 a[152:153], v6 offset:9216              // 0000000076D0: DBC62400 98000006
	ds_read_b64_tr_b16 a[154:155], v6 offset:9472              // 0000000076D8: DBC62500 9A000006
	ds_read_b64_tr_b16 a[156:157], v7 offset:9216              // 0000000076E0: DBC62400 9C000007
	ds_read_b64_tr_b16 a[158:159], v7 offset:9472              // 0000000076E8: DBC62500 9E000007
	v_mfma_f32_16x16x32_bf16 v[82:85], a[192:195], v[26:29], v[82:85]// 0000000076F0: D3B50052 0D4A35C0
	ds_read_b64_tr_b16 a[160:161], v6 offset:10240             // 0000000076F8: DBC62800 A0000006
	ds_read_b64_tr_b16 a[162:163], v6 offset:10496             // 000000007700: DBC62900 A2000006
	ds_read_b64_tr_b16 a[164:165], v7 offset:10240             // 000000007708: DBC62800 A4000007
	ds_read_b64_tr_b16 a[166:167], v7 offset:10496             // 000000007710: DBC62900 A6000007
	v_mfma_f32_16x16x32_bf16 v[86:89], a[196:199], v[26:29], v[86:89]// 000000007718: D3B50056 0D5A35C4
	ds_read_b64_tr_b16 a[168:169], v6 offset:11264             // 000000007720: DBC62C00 A8000006
	ds_read_b64_tr_b16 a[170:171], v6 offset:11520             // 000000007728: DBC62D00 AA000006
	ds_read_b64_tr_b16 a[172:173], v7 offset:11264             // 000000007730: DBC62C00 AC000007
	ds_read_b64_tr_b16 a[174:175], v7 offset:11520             // 000000007738: DBC62D00 AE000007
	v_mfma_f32_16x16x32_bf16 v[90:93], a[200:203], v[26:29], v[90:93]// 000000007740: D3B5005A 0D6A35C8
	ds_read_b64_tr_b16 a[176:177], v6 offset:12288             // 000000007748: DBC63000 B0000006
	ds_read_b64_tr_b16 a[178:179], v6 offset:12544             // 000000007750: DBC63100 B2000006
	ds_read_b64_tr_b16 a[180:181], v7 offset:12288             // 000000007758: DBC63000 B4000007
	ds_read_b64_tr_b16 a[182:183], v7 offset:12544             // 000000007760: DBC63100 B6000007
	v_mfma_f32_16x16x32_bf16 v[94:97], a[204:207], v[26:29], v[94:97]// 000000007768: D3B5005E 0D7A35CC
	ds_read_b64_tr_b16 a[184:185], v6 offset:13312             // 000000007770: DBC63400 B8000006
	ds_read_b64_tr_b16 a[186:187], v6 offset:13568             // 000000007778: DBC63500 BA000006
	ds_read_b64_tr_b16 a[188:189], v7 offset:13312             // 000000007780: DBC63400 BC000007
	ds_read_b64_tr_b16 a[190:191], v7 offset:13568             // 000000007788: DBC63500 BE000007
	ds_read_b64_tr_b16 a[192:193], v6 offset:14336             // 000000007790: DBC63800 C0000006
	ds_read_b64_tr_b16 a[194:195], v6 offset:14592             // 000000007798: DBC63900 C2000006
	ds_read_b64_tr_b16 a[196:197], v7 offset:14336             // 0000000077A0: DBC63800 C4000007
	ds_read_b64_tr_b16 a[198:199], v7 offset:14592             // 0000000077A8: DBC63900 C6000007
	ds_read_b64_tr_b16 a[200:201], v6 offset:15360             // 0000000077B0: DBC63C00 C8000006
	ds_read_b64_tr_b16 a[202:203], v6 offset:15616             // 0000000077B8: DBC63D00 CA000006
	ds_read_b64_tr_b16 a[204:205], v7 offset:15360             // 0000000077C0: DBC63C00 CC000007
	ds_read_b64_tr_b16 a[206:207], v7 offset:15616             // 0000000077C8: DBC63D00 CE000007
	s_waitcnt lgkmcnt(0)                                       // 0000000077D0: BF8CC07F
	v_mfma_f32_16x16x32_bf16 v[98:101], a[144:147], v[26:29], v[98:101]// 0000000077D4: D3B50062 0D8A3590
	v_mfma_f32_16x16x32_bf16 v[102:105], a[148:151], v[26:29], v[102:105]// 0000000077DC: D3B50066 0D9A3594
	v_mfma_f32_16x16x32_bf16 v[106:109], a[152:155], v[26:29], v[106:109]// 0000000077E4: D3B5006A 0DAA3598
	v_mfma_f32_16x16x32_bf16 v[110:113], a[156:159], v[26:29], v[110:113]// 0000000077EC: D3B5006E 0DBA359C
	v_mfma_f32_16x16x32_bf16 v[114:117], a[160:163], v[26:29], v[114:117]// 0000000077F4: D3B50072 0DCA35A0
	v_mfma_f32_16x16x32_bf16 v[118:121], a[164:167], v[26:29], v[118:121]// 0000000077FC: D3B50076 0DDA35A4
	v_mfma_f32_16x16x32_bf16 v[122:125], a[168:171], v[26:29], v[122:125]// 000000007804: D3B5007A 0DEA35A8
	v_mfma_f32_16x16x32_bf16 v[126:129], a[172:175], v[26:29], v[126:129]// 00000000780C: D3B5007E 0DFA35AC
	v_mfma_f32_16x16x32_bf16 v[130:133], a[176:179], v[26:29], v[130:133]// 000000007814: D3B50082 0E0A35B0
	v_mfma_f32_16x16x32_bf16 v[134:137], a[180:183], v[26:29], v[134:137]// 00000000781C: D3B50086 0E1A35B4
	v_mfma_f32_16x16x32_bf16 v[138:141], a[184:187], v[26:29], v[138:141]// 000000007824: D3B5008A 0E2A35B8
	v_mfma_f32_16x16x32_bf16 v[142:145], a[188:191], v[26:29], v[142:145]// 00000000782C: D3B5008E 0E3A35BC
	v_mfma_f32_16x16x32_bf16 v[146:149], a[192:195], v[26:29], v[146:149]// 000000007834: D3B50092 0E4A35C0
	v_mfma_f32_16x16x32_bf16 v[150:153], a[196:199], v[26:29], v[150:153]// 00000000783C: D3B50096 0E5A35C4
	v_mfma_f32_16x16x32_bf16 v[154:157], a[200:203], v[26:29], v[154:157]// 000000007844: D3B5009A 0E6A35C8
	v_mfma_f32_16x16x32_bf16 v[158:161], a[204:207], v[26:29], v[158:161]// 00000000784C: D3B5009E 0E7A35CC
	s_nop 8                                                    // 000000007854: BF800008
	s_branch label_6B5C                                        // 000000007858: BF8204FE

000000000000785c <label_555C>:
	s_waitcnt lgkmcnt(10)                                      // 00000000785C: BF8CCA7F
	v_mfma_f32_16x16x32_bf16 v[26:29], a[72:75], a[0:3], 0     // 000000007860: D3B5001A 1A020148
	ds_read_b128 a[72:75], v15 offset:18432                    // 000000007868: DBFE4800 4800000F
	v_mfma_f32_16x16x32_bf16 v[26:29], a[76:79], a[4:7], v[26:29]// 000000007870: D3B5001A 1C6A094C
	ds_read_b128 a[76:79], v15 offset:19456                    // 000000007878: DBFE4C00 4C00000F
	v_mfma_f32_16x16x32_bf16 v[26:29], a[80:83], a[8:11], v[26:29]// 000000007880: D3B5001A 1C6A1150
	ds_read_b128 a[80:83], v15 offset:20480                    // 000000007888: DBFE5000 5000000F
	v_mfma_f32_16x16x32_bf16 v[26:29], a[84:87], a[12:15], v[26:29]// 000000007890: D3B5001A 1C6A1954
	ds_read_b128 a[84:87], v15 offset:21504                    // 000000007898: DBFE5400 5400000F
	v_mfma_f32_16x16x32_bf16 v[26:29], a[88:91], a[16:19], v[26:29]// 0000000078A0: D3B5001A 1C6A2158
	ds_read_b128 a[88:91], v15 offset:22528                    // 0000000078A8: DBFE5800 5800000F
	v_mfma_f32_16x16x32_bf16 v[26:29], a[92:95], a[20:23], v[26:29]// 0000000078B0: D3B5001A 1C6A295C
	ds_read_b128 a[92:95], v15 offset:23552                    // 0000000078B8: DBFE5C00 5C00000F
	v_mfma_f32_16x16x32_bf16 v[26:29], a[96:99], a[24:27], v[26:29]// 0000000078C0: D3B5001A 1C6A3160
	ds_read_b128 a[96:99], v15 offset:24576                    // 0000000078C8: DBFE6000 6000000F
	v_mfma_f32_16x16x32_bf16 v[26:29], a[100:103], a[28:31], v[26:29]// 0000000078D0: D3B5001A 1C6A3964
	ds_read_b128 a[100:103], v15 offset:25600                  // 0000000078D8: DBFE6400 6400000F
	v_mfma_f32_16x16x32_bf16 v[26:29], a[104:107], a[32:35], v[26:29]// 0000000078E0: D3B5001A 1C6A4168
	ds_read_b128 a[104:107], v15 offset:26624                  // 0000000078E8: DBFE6800 6800000F
	v_mfma_f32_16x16x32_bf16 v[26:29], a[108:111], a[36:39], v[26:29]// 0000000078F0: D3B5001A 1C6A496C
	ds_read_b128 a[108:111], v15 offset:27648                  // 0000000078F8: DBFE6C00 6C00000F
	v_mfma_f32_16x16x32_bf16 v[26:29], a[112:115], a[40:43], v[26:29]// 000000007900: D3B5001A 1C6A5170
	ds_read_b128 a[112:115], v15 offset:28672                  // 000000007908: DBFE7000 7000000F
	v_mfma_f32_16x16x32_bf16 v[26:29], a[116:119], a[44:47], v[26:29]// 000000007910: D3B5001A 1C6A5974
	ds_read_b128 a[116:119], v15 offset:29696                  // 000000007918: DBFE7400 7400000F
	v_mfma_f32_16x16x32_bf16 v[26:29], a[120:123], a[48:51], v[26:29]// 000000007920: D3B5001A 1C6A6178
	ds_read_b128 a[120:123], v15 offset:30720                  // 000000007928: DBFE7800 7800000F
	v_mfma_f32_16x16x32_bf16 v[26:29], a[124:127], a[52:55], v[26:29]// 000000007930: D3B5001A 1C6A697C
	ds_read_b128 a[124:127], v15 offset:31744                  // 000000007938: DBFE7C00 7C00000F
	v_mfma_f32_16x16x32_bf16 v[26:29], a[128:131], a[56:59], v[26:29]// 000000007940: D3B5001A 1C6A7180
	ds_read_b128 a[128:131], v15 offset:32768                  // 000000007948: DBFE8000 8000000F
	v_mfma_f32_16x16x32_bf16 v[26:29], a[132:135], a[60:63], v[26:29]// 000000007950: D3B5001A 1C6A7984
	ds_read_b128 a[132:135], v15 offset:33792                  // 000000007958: DBFE8400 8400000F
	v_mfma_f32_16x16x32_bf16 v[26:29], a[136:139], a[64:67], v[26:29]// 000000007960: D3B5001A 1C6A8188
	ds_read_b128 a[136:139], v15 offset:34816                  // 000000007968: DBFE8800 8800000F
	v_mfma_f32_16x16x32_bf16 v[26:29], a[140:143], a[68:71], v[26:29]// 000000007970: D3B5001A 1C6A898C
	ds_read_b128 a[140:143], v15 offset:35840                  // 000000007978: DBFE8C00 8C00000F
	s_waitcnt lgkmcnt(10)                                      // 000000007980: BF8CCA7F
	v_mfma_f32_16x16x32_bf16 v[30:33], a[72:75], a[0:3], 0     // 000000007984: D3B5001E 1A020148
	ds_read_b64_tr_b16 a[144:145], v8                          // 00000000798C: DBC60000 90000008
	ds_read_b64_tr_b16 a[146:147], v8 offset:256               // 000000007994: DBC60100 92000008
	ds_read_b64_tr_b16 a[148:149], v9                          // 00000000799C: DBC60000 94000009
	ds_read_b64_tr_b16 a[150:151], v9 offset:256               // 0000000079A4: DBC60100 96000009
	v_mfma_f32_16x16x32_bf16 v[30:33], a[76:79], a[4:7], v[30:33]// 0000000079AC: D3B5001E 1C7A094C
	ds_read_b64_tr_b16 a[152:153], v8 offset:1024              // 0000000079B4: DBC60400 98000008
	ds_read_b64_tr_b16 a[154:155], v8 offset:1280              // 0000000079BC: DBC60500 9A000008
	ds_read_b64_tr_b16 a[156:157], v9 offset:1024              // 0000000079C4: DBC60400 9C000009
	ds_read_b64_tr_b16 a[158:159], v9 offset:1280              // 0000000079CC: DBC60500 9E000009
	v_mfma_f32_16x16x32_bf16 v[30:33], a[80:83], a[8:11], v[30:33]// 0000000079D4: D3B5001E 1C7A1150
	ds_read_b64_tr_b16 a[160:161], v8 offset:2048              // 0000000079DC: DBC60800 A0000008
	ds_read_b64_tr_b16 a[162:163], v8 offset:2304              // 0000000079E4: DBC60900 A2000008
	ds_read_b64_tr_b16 a[164:165], v9 offset:2048              // 0000000079EC: DBC60800 A4000009
	ds_read_b64_tr_b16 a[166:167], v9 offset:2304              // 0000000079F4: DBC60900 A6000009
	v_mfma_f32_16x16x32_bf16 v[30:33], a[84:87], a[12:15], v[30:33]// 0000000079FC: D3B5001E 1C7A1954
	ds_read_b64_tr_b16 a[168:169], v8 offset:3072              // 000000007A04: DBC60C00 A8000008
	ds_read_b64_tr_b16 a[170:171], v8 offset:3328              // 000000007A0C: DBC60D00 AA000008
	ds_read_b64_tr_b16 a[172:173], v9 offset:3072              // 000000007A14: DBC60C00 AC000009
	ds_read_b64_tr_b16 a[174:175], v9 offset:3328              // 000000007A1C: DBC60D00 AE000009
	v_mfma_f32_16x16x32_bf16 v[30:33], a[88:91], a[16:19], v[30:33]// 000000007A24: D3B5001E 1C7A2158
	ds_read_b64_tr_b16 a[176:177], v8 offset:4096              // 000000007A2C: DBC61000 B0000008
	ds_read_b64_tr_b16 a[178:179], v8 offset:4352              // 000000007A34: DBC61100 B2000008
	ds_read_b64_tr_b16 a[180:181], v9 offset:4096              // 000000007A3C: DBC61000 B4000009
	ds_read_b64_tr_b16 a[182:183], v9 offset:4352              // 000000007A44: DBC61100 B6000009
	v_mfma_f32_16x16x32_bf16 v[30:33], a[92:95], a[20:23], v[30:33]// 000000007A4C: D3B5001E 1C7A295C
	ds_read_b64_tr_b16 a[184:185], v8 offset:5120              // 000000007A54: DBC61400 B8000008
	ds_read_b64_tr_b16 a[186:187], v8 offset:5376              // 000000007A5C: DBC61500 BA000008
	ds_read_b64_tr_b16 a[188:189], v9 offset:5120              // 000000007A64: DBC61400 BC000009
	ds_read_b64_tr_b16 a[190:191], v9 offset:5376              // 000000007A6C: DBC61500 BE000009
	v_mfma_f32_16x16x32_bf16 v[30:33], a[96:99], a[24:27], v[30:33]// 000000007A74: D3B5001E 1C7A3160
	ds_read_b64_tr_b16 a[192:193], v8 offset:6144              // 000000007A7C: DBC61800 C0000008
	ds_read_b64_tr_b16 a[194:195], v8 offset:6400              // 000000007A84: DBC61900 C2000008
	ds_read_b64_tr_b16 a[196:197], v9 offset:6144              // 000000007A8C: DBC61800 C4000009
	ds_read_b64_tr_b16 a[198:199], v9 offset:6400              // 000000007A94: DBC61900 C6000009
	v_mfma_f32_16x16x32_bf16 v[30:33], a[100:103], a[28:31], v[30:33]// 000000007A9C: D3B5001E 1C7A3964
	ds_read_b64_tr_b16 a[200:201], v8 offset:7168              // 000000007AA4: DBC61C00 C8000008
	ds_read_b64_tr_b16 a[202:203], v8 offset:7424              // 000000007AAC: DBC61D00 CA000008
	ds_read_b64_tr_b16 a[204:205], v9 offset:7168              // 000000007AB4: DBC61C00 CC000009
	ds_read_b64_tr_b16 a[206:207], v9 offset:7424              // 000000007ABC: DBC61D00 CE000009
	v_mfma_f32_16x16x32_bf16 v[30:33], a[104:107], a[32:35], v[30:33]// 000000007AC4: D3B5001E 1C7A4168
	v_mfma_f32_16x16x32_bf16 v[30:33], a[108:111], a[36:39], v[30:33]// 000000007ACC: D3B5001E 1C7A496C
	v_mfma_f32_16x16x32_bf16 v[30:33], a[112:115], a[40:43], v[30:33]// 000000007AD4: D3B5001E 1C7A5170
	v_mfma_f32_16x16x32_bf16 v[30:33], a[116:119], a[44:47], v[30:33]// 000000007ADC: D3B5001E 1C7A5974
	v_mfma_f32_16x16x32_bf16 v[30:33], a[120:123], a[48:51], v[30:33]// 000000007AE4: D3B5001E 1C7A6178
	v_mfma_f32_16x16x32_bf16 v[30:33], a[124:127], a[52:55], v[30:33]// 000000007AEC: D3B5001E 1C7A697C
	v_mfma_f32_16x16x32_bf16 v[30:33], a[128:131], a[56:59], v[30:33]// 000000007AF4: D3B5001E 1C7A7180
	v_mfma_f32_16x16x32_bf16 v[30:33], a[132:135], a[60:63], v[30:33]// 000000007AFC: D3B5001E 1C7A7984
	v_mfma_f32_16x16x32_bf16 v[30:33], a[136:139], a[64:67], v[30:33]// 000000007B04: D3B5001E 1C7A8188
	v_mfma_f32_16x16x32_bf16 v[30:33], a[140:143], a[68:71], v[30:33]// 000000007B0C: D3B5001E 1C7A898C
	s_nop 8                                                    // 000000007B14: BF800008
	s_and_b32 s56, s48, 0xff                                   // 000000007B18: 8638FF30 000000FF
	v_mov_b32_e32 v23, s56                                     // 000000007B20: 7E2E0238
	v_lshrrev_b32_e32 v162, 4, v0                              // 000000007B24: 21440084
	v_mul_i32_i24_e32 v162, 4, v162                            // 000000007B28: 0D454484
	v_add_u32_e32 v163, 1, v162                                // 000000007B2C: 69474481
	v_add_u32_e32 v164, 2, v162                                // 000000007B30: 69494482
	v_add_u32_e32 v165, 3, v162                                // 000000007B34: 694B4483
	v_mov_b32_e32 v22, 0xff800000                              // 000000007B38: 7E2C02FF FF800000
	v_cmp_lt_u32_e64 s[36:37], v162, v23                       // 000000007B40: D0C90024 00022FA2
	v_add_u32_e32 v162, 16, v162                               // 000000007B48: 69454490
	s_nop 0                                                    // 000000007B4C: BF800000
	v_cndmask_b32_e64 v26, v22, v26, s[36:37]                  // 000000007B50: D100001A 00923516
	v_cmp_lt_u32_e64 s[36:37], v163, v23                       // 000000007B58: D0C90024 00022FA3
	v_add_u32_e32 v163, 16, v163                               // 000000007B60: 69474690
	s_nop 0                                                    // 000000007B64: BF800000
	v_cndmask_b32_e64 v27, v22, v27, s[36:37]                  // 000000007B68: D100001B 00923716
	v_cmp_lt_u32_e64 s[36:37], v164, v23                       // 000000007B70: D0C90024 00022FA4
	v_add_u32_e32 v164, 16, v164                               // 000000007B78: 69494890
	s_nop 0                                                    // 000000007B7C: BF800000
	v_cndmask_b32_e64 v28, v22, v28, s[36:37]                  // 000000007B80: D100001C 00923916
	v_cmp_lt_u32_e64 s[36:37], v165, v23                       // 000000007B88: D0C90024 00022FA5
	v_add_u32_e32 v165, 16, v165                               // 000000007B90: 694B4A90
	s_nop 0                                                    // 000000007B94: BF800000
	v_cndmask_b32_e64 v29, v22, v29, s[36:37]                  // 000000007B98: D100001D 00923B16
	v_cmp_lt_u32_e64 s[36:37], v162, v23                       // 000000007BA0: D0C90024 00022FA2
	v_add_u32_e32 v162, 16, v162                               // 000000007BA8: 69454490
	s_nop 0                                                    // 000000007BAC: BF800000
	v_cndmask_b32_e64 v30, v22, v30, s[36:37]                  // 000000007BB0: D100001E 00923D16
	v_cmp_lt_u32_e64 s[36:37], v163, v23                       // 000000007BB8: D0C90024 00022FA3
	v_add_u32_e32 v163, 16, v163                               // 000000007BC0: 69474690
	s_nop 0                                                    // 000000007BC4: BF800000
	v_cndmask_b32_e64 v31, v22, v31, s[36:37]                  // 000000007BC8: D100001F 00923F16
	v_cmp_lt_u32_e64 s[36:37], v164, v23                       // 000000007BD0: D0C90024 00022FA4
	v_add_u32_e32 v164, 16, v164                               // 000000007BD8: 69494890
	s_nop 0                                                    // 000000007BDC: BF800000
	v_cndmask_b32_e64 v32, v22, v32, s[36:37]                  // 000000007BE0: D1000020 00924116
	v_cmp_lt_u32_e64 s[36:37], v165, v23                       // 000000007BE8: D0C90024 00022FA5
	v_add_u32_e32 v165, 16, v165                               // 000000007BF0: 694B4A90
	s_nop 0                                                    // 000000007BF4: BF800000
	v_cndmask_b32_e64 v33, v22, v33, s[36:37]                  // 000000007BF8: D1000021 00924316
	s_cmp_le_i32 s83, s82                                      // 000000007C00: BF055253
	s_cbranch_scc1 label_59FC                                  // 000000007C04: BF85003D
	v_mov_b32_e32 v22, s82                                     // 000000007C08: 7E2C0252
	s_sub_u32 s58, s81, s80                                    // 000000007C0C: 80BA5051
	s_add_u32 s58, s58, s7                                     // 000000007C10: 803A073A
	v_add_u32_e32 v22, s58, v22                                // 000000007C14: 682C2C3A
	s_sub_u32 s56, s83, 31                                     // 000000007C18: 80B89F53
	v_lshrrev_b32_e32 v162, 4, v0                              // 000000007C1C: 21440084
	v_mul_i32_i24_e32 v162, 4, v162                            // 000000007C20: 0D454484
	v_add_u32_e32 v162, s56, v162                              // 000000007C24: 69454438
	v_add_u32_e32 v163, 1, v162                                // 000000007C28: 69474481
	v_add_u32_e32 v164, 2, v162                                // 000000007C2C: 69494482
	v_add_u32_e32 v165, 3, v162                                // 000000007C30: 694B4483
	v_mov_b32_e32 v23, 0xff800000                              // 000000007C34: 7E2E02FF FF800000
	v_cmp_le_u32_e64 s[36:37], v162, v22                       // 000000007C3C: D0CB0024 00022DA2
	v_add_u32_e32 v162, 16, v162                               // 000000007C44: 69454490
	s_nop 0                                                    // 000000007C48: BF800000
	v_cndmask_b32_e64 v26, v23, v26, s[36:37]                  // 000000007C4C: D100001A 00923517
	v_cmp_le_u32_e64 s[36:37], v163, v22                       // 000000007C54: D0CB0024 00022DA3
	v_add_u32_e32 v163, 16, v163                               // 000000007C5C: 69474690
	s_nop 0                                                    // 000000007C60: BF800000
	v_cndmask_b32_e64 v27, v23, v27, s[36:37]                  // 000000007C64: D100001B 00923717
	v_cmp_le_u32_e64 s[36:37], v164, v22                       // 000000007C6C: D0CB0024 00022DA4
	v_add_u32_e32 v164, 16, v164                               // 000000007C74: 69494890
	s_nop 0                                                    // 000000007C78: BF800000
	v_cndmask_b32_e64 v28, v23, v28, s[36:37]                  // 000000007C7C: D100001C 00923917
	v_cmp_le_u32_e64 s[36:37], v165, v22                       // 000000007C84: D0CB0024 00022DA5
	v_add_u32_e32 v165, 16, v165                               // 000000007C8C: 694B4A90
	s_nop 0                                                    // 000000007C90: BF800000
	v_cndmask_b32_e64 v29, v23, v29, s[36:37]                  // 000000007C94: D100001D 00923B17
	v_cmp_le_u32_e64 s[36:37], v162, v22                       // 000000007C9C: D0CB0024 00022DA2
	v_add_u32_e32 v162, 16, v162                               // 000000007CA4: 69454490
	s_nop 0                                                    // 000000007CA8: BF800000
	v_cndmask_b32_e64 v30, v23, v30, s[36:37]                  // 000000007CAC: D100001E 00923D17
	v_cmp_le_u32_e64 s[36:37], v163, v22                       // 000000007CB4: D0CB0024 00022DA3
	v_add_u32_e32 v163, 16, v163                               // 000000007CBC: 69474690
	s_nop 0                                                    // 000000007CC0: BF800000
	v_cndmask_b32_e64 v31, v23, v31, s[36:37]                  // 000000007CC4: D100001F 00923F17
	v_cmp_le_u32_e64 s[36:37], v164, v22                       // 000000007CCC: D0CB0024 00022DA4
	v_add_u32_e32 v164, 16, v164                               // 000000007CD4: 69494890
	s_nop 0                                                    // 000000007CD8: BF800000
	v_cndmask_b32_e64 v32, v23, v32, s[36:37]                  // 000000007CDC: D1000020 00924117
	v_cmp_le_u32_e64 s[36:37], v165, v22                       // 000000007CE4: D0CB0024 00022DA5
	v_add_u32_e32 v165, 16, v165                               // 000000007CEC: 694B4A90
	s_nop 0                                                    // 000000007CF0: BF800000
	v_cndmask_b32_e64 v33, v23, v33, s[36:37]                  // 000000007CF4: D1000021 00924317

0000000000007cfc <label_59FC>:
	s_add_u32 s83, s84, s83                                    // 000000007CFC: 80535354
	s_nop 2                                                    // 000000007D00: BF800002
	v_mov_b32_e32 v23, v26                                     // 000000007D04: 7E2E031A
	v_max3_f32 v23, v26, v27, v23                              // 000000007D08: D1D30017 045E371A
	v_max3_f32 v23, v28, v29, v23                              // 000000007D10: D1D30017 045E3B1C
	v_max3_f32 v23, v30, v31, v23                              // 000000007D18: D1D30017 045E3F1E
	v_max3_f32 v23, v32, v33, v23                              // 000000007D20: D1D30017 045E4320
	v_mov_b32_e32 v22, v23                                     // 000000007D28: 7E2C0317
	v_mov_b32_e32 v23, v23                                     // 000000007D2C: 7E2E0317
	s_nop 1                                                    // 000000007D30: BF800001
	v_permlane16_swap_b32_e32 v22, v23                         // 000000007D34: 7E2CB317
	v_mov_b32_e32 v25, v22                                     // 000000007D38: 7E320316
	v_mov_b32_e32 v24, v23                                     // 000000007D3C: 7E300317
	s_nop 1                                                    // 000000007D40: BF800001
	v_permlane32_swap_b32_e32 v22, v23                         // 000000007D44: 7E2CB517
	v_permlane32_swap_b32_e32 v24, v25                         // 000000007D48: 7E30B519
	v_max3_f32 v23, v22, v23, v23                              // 000000007D4C: D1D30017 045E2F16
	v_max3_f32 v23, v24, v25, v23                              // 000000007D54: D1D30017 045E3318
	v_mov_b32_e32 v22, 0xff800000                              // 000000007D5C: 7E2C02FF FF800000
	v_cmp_eq_u32_e64 s[36:37], v22, v2                         // 000000007D64: D0CA0024 00020516
	v_max_f32_e32 v23, v23, v2                                 // 000000007D6C: 162E0517
	v_sub_f32_e32 v12, v2, v23                                 // 000000007D70: 04182F02
	v_cndmask_b32_e64 v12, v12, 0, s[36:37]                    // 000000007D74: D100000C 0091010C
	v_mov_b32_e32 v2, v23                                      // 000000007D7C: 7E040317
	v_mul_f32_e32 v23, s5, v23                                 // 000000007D80: 0A2E2E05
	v_mul_f32_e32 v12, s5, v12                                 // 000000007D84: 0A181805
	v_exp_f32_e32 v12, v12                                     // 000000007D88: 7E18410C
	v_fma_f32 v26, v26, s5, -v23                               // 000000007D8C: D1CB001A 845C0B1A
	v_fma_f32 v27, v27, s5, -v23                               // 000000007D94: D1CB001B 845C0B1B
	v_fma_f32 v28, v28, s5, -v23                               // 000000007D9C: D1CB001C 845C0B1C
	v_fma_f32 v29, v29, s5, -v23                               // 000000007DA4: D1CB001D 845C0B1D
	v_fma_f32 v30, v30, s5, -v23                               // 000000007DAC: D1CB001E 845C0B1E
	v_fma_f32 v31, v31, s5, -v23                               // 000000007DB4: D1CB001F 845C0B1F
	v_fma_f32 v32, v32, s5, -v23                               // 000000007DBC: D1CB0020 845C0B20
	v_fma_f32 v33, v33, s5, -v23                               // 000000007DC4: D1CB0021 845C0B21
	v_exp_f32_e32 v26, v26                                     // 000000007DCC: 7E34411A
	v_exp_f32_e32 v27, v27                                     // 000000007DD0: 7E36411B
	v_exp_f32_e32 v28, v28                                     // 000000007DD4: 7E38411C
	v_exp_f32_e32 v29, v29                                     // 000000007DD8: 7E3A411D
	v_exp_f32_e32 v30, v30                                     // 000000007DDC: 7E3C411E
	v_exp_f32_e32 v31, v31                                     // 000000007DE0: 7E3E411F
	v_exp_f32_e32 v32, v32                                     // 000000007DE4: 7E404120
	v_exp_f32_e32 v33, v33                                     // 000000007DE8: 7E424121
	v_mul_f32_e32 v4, v12, v4                                  // 000000007DEC: 0A08090C
	v_mov_b32_e32 v22, v26                                     // 000000007DF0: 7E2C031A
	v_add_f32_e32 v22, v27, v22                                // 000000007DF4: 022C2D1B
	v_add_f32_e32 v22, v28, v22                                // 000000007DF8: 022C2D1C
	v_add_f32_e32 v22, v29, v22                                // 000000007DFC: 022C2D1D
	v_add_f32_e32 v22, v30, v22                                // 000000007E00: 022C2D1E
	v_add_f32_e32 v22, v31, v22                                // 000000007E04: 022C2D1F
	v_add_f32_e32 v22, v32, v22                                // 000000007E08: 022C2D20
	v_add_f32_e32 v22, v33, v22                                // 000000007E0C: 022C2D21
	v_add_f32_e32 v4, v22, v4                                  // 000000007E10: 02080916
	v_cvt_pk_bf16_f32 v26, v26, v27                            // 000000007E14: D268001A 0002371A
	v_cvt_pk_bf16_f32 v27, v28, v29                            // 000000007E1C: D268001B 00023B1C
	v_cvt_pk_bf16_f32 v28, v30, v31                            // 000000007E24: D268001C 00023F1E
	v_cvt_pk_bf16_f32 v29, v32, v33                            // 000000007E2C: D268001D 00024320
	s_nop 0                                                    // 000000007E34: BF800000
	v_permlane32_swap_b32_e32 v26, v28                         // 000000007E38: 7E34B51C
	v_permlane32_swap_b32_e32 v27, v29                         // 000000007E3C: 7E36B51D
	s_nop 0                                                    // 000000007E40: BF800000
	v_permlane16_swap_b32_e32 v26, v28                         // 000000007E44: 7E34B31C
	v_permlane16_swap_b32_e32 v27, v29                         // 000000007E48: 7E36B31D
	v_mul_f32_e32 v34, v12, v34                                // 000000007E4C: 0A44450C
	v_mul_f32_e32 v35, v12, v35                                // 000000007E50: 0A46470C
	v_mul_f32_e32 v36, v12, v36                                // 000000007E54: 0A48490C
	v_mul_f32_e32 v37, v12, v37                                // 000000007E58: 0A4A4B0C
	v_mul_f32_e32 v38, v12, v38                                // 000000007E5C: 0A4C4D0C
	v_mul_f32_e32 v39, v12, v39                                // 000000007E60: 0A4E4F0C
	v_mul_f32_e32 v40, v12, v40                                // 000000007E64: 0A50510C
	v_mul_f32_e32 v41, v12, v41                                // 000000007E68: 0A52530C
	v_mul_f32_e32 v42, v12, v42                                // 000000007E6C: 0A54550C
	v_mul_f32_e32 v43, v12, v43                                // 000000007E70: 0A56570C
	v_mul_f32_e32 v44, v12, v44                                // 000000007E74: 0A58590C
	v_mul_f32_e32 v45, v12, v45                                // 000000007E78: 0A5A5B0C
	v_mul_f32_e32 v46, v12, v46                                // 000000007E7C: 0A5C5D0C
	v_mul_f32_e32 v47, v12, v47                                // 000000007E80: 0A5E5F0C
	v_mul_f32_e32 v48, v12, v48                                // 000000007E84: 0A60610C
	v_mul_f32_e32 v49, v12, v49                                // 000000007E88: 0A62630C
	v_mul_f32_e32 v50, v12, v50                                // 000000007E8C: 0A64650C
	v_mul_f32_e32 v51, v12, v51                                // 000000007E90: 0A66670C
	v_mul_f32_e32 v52, v12, v52                                // 000000007E94: 0A68690C
	v_mul_f32_e32 v53, v12, v53                                // 000000007E98: 0A6A6B0C
	v_mul_f32_e32 v54, v12, v54                                // 000000007E9C: 0A6C6D0C
	v_mul_f32_e32 v55, v12, v55                                // 000000007EA0: 0A6E6F0C
	v_mul_f32_e32 v56, v12, v56                                // 000000007EA4: 0A70710C
	v_mul_f32_e32 v57, v12, v57                                // 000000007EA8: 0A72730C
	v_mul_f32_e32 v58, v12, v58                                // 000000007EAC: 0A74750C
	v_mul_f32_e32 v59, v12, v59                                // 000000007EB0: 0A76770C
	v_mul_f32_e32 v60, v12, v60                                // 000000007EB4: 0A78790C
	v_mul_f32_e32 v61, v12, v61                                // 000000007EB8: 0A7A7B0C
	v_mul_f32_e32 v62, v12, v62                                // 000000007EBC: 0A7C7D0C
	v_mul_f32_e32 v63, v12, v63                                // 000000007EC0: 0A7E7F0C
	v_mul_f32_e32 v64, v12, v64                                // 000000007EC4: 0A80810C
	v_mul_f32_e32 v65, v12, v65                                // 000000007EC8: 0A82830C
	v_mul_f32_e32 v66, v12, v66                                // 000000007ECC: 0A84850C
	v_mul_f32_e32 v67, v12, v67                                // 000000007ED0: 0A86870C
	v_mul_f32_e32 v68, v12, v68                                // 000000007ED4: 0A88890C
	v_mul_f32_e32 v69, v12, v69                                // 000000007ED8: 0A8A8B0C
	v_mul_f32_e32 v70, v12, v70                                // 000000007EDC: 0A8C8D0C
	v_mul_f32_e32 v71, v12, v71                                // 000000007EE0: 0A8E8F0C
	v_mul_f32_e32 v72, v12, v72                                // 000000007EE4: 0A90910C
	v_mul_f32_e32 v73, v12, v73                                // 000000007EE8: 0A92930C
	v_mul_f32_e32 v74, v12, v74                                // 000000007EEC: 0A94950C
	v_mul_f32_e32 v75, v12, v75                                // 000000007EF0: 0A96970C
	v_mul_f32_e32 v76, v12, v76                                // 000000007EF4: 0A98990C
	v_mul_f32_e32 v77, v12, v77                                // 000000007EF8: 0A9A9B0C
	v_mul_f32_e32 v78, v12, v78                                // 000000007EFC: 0A9C9D0C
	v_mul_f32_e32 v79, v12, v79                                // 000000007F00: 0A9E9F0C
	v_mul_f32_e32 v80, v12, v80                                // 000000007F04: 0AA0A10C
	v_mul_f32_e32 v81, v12, v81                                // 000000007F08: 0AA2A30C
	v_mul_f32_e32 v82, v12, v82                                // 000000007F0C: 0AA4A50C
	v_mul_f32_e32 v83, v12, v83                                // 000000007F10: 0AA6A70C
	v_mul_f32_e32 v84, v12, v84                                // 000000007F14: 0AA8A90C
	v_mul_f32_e32 v85, v12, v85                                // 000000007F18: 0AAAAB0C
	v_mul_f32_e32 v86, v12, v86                                // 000000007F1C: 0AACAD0C
	v_mul_f32_e32 v87, v12, v87                                // 000000007F20: 0AAEAF0C
	v_mul_f32_e32 v88, v12, v88                                // 000000007F24: 0AB0B10C
	v_mul_f32_e32 v89, v12, v89                                // 000000007F28: 0AB2B30C
	v_mul_f32_e32 v90, v12, v90                                // 000000007F2C: 0AB4B50C
	v_mul_f32_e32 v91, v12, v91                                // 000000007F30: 0AB6B70C
	v_mul_f32_e32 v92, v12, v92                                // 000000007F34: 0AB8B90C
	v_mul_f32_e32 v93, v12, v93                                // 000000007F38: 0ABABB0C
	v_mul_f32_e32 v94, v12, v94                                // 000000007F3C: 0ABCBD0C
	v_mul_f32_e32 v95, v12, v95                                // 000000007F40: 0ABEBF0C
	v_mul_f32_e32 v96, v12, v96                                // 000000007F44: 0AC0C10C
	v_mul_f32_e32 v97, v12, v97                                // 000000007F48: 0AC2C30C
	v_mul_f32_e32 v98, v12, v98                                // 000000007F4C: 0AC4C50C
	v_mul_f32_e32 v99, v12, v99                                // 000000007F50: 0AC6C70C
	v_mul_f32_e32 v100, v12, v100                              // 000000007F54: 0AC8C90C
	v_mul_f32_e32 v101, v12, v101                              // 000000007F58: 0ACACB0C
	v_mul_f32_e32 v102, v12, v102                              // 000000007F5C: 0ACCCD0C
	v_mul_f32_e32 v103, v12, v103                              // 000000007F60: 0ACECF0C
	v_mul_f32_e32 v104, v12, v104                              // 000000007F64: 0AD0D10C
	v_mul_f32_e32 v105, v12, v105                              // 000000007F68: 0AD2D30C
	v_mul_f32_e32 v106, v12, v106                              // 000000007F6C: 0AD4D50C
	v_mul_f32_e32 v107, v12, v107                              // 000000007F70: 0AD6D70C
	v_mul_f32_e32 v108, v12, v108                              // 000000007F74: 0AD8D90C
	v_mul_f32_e32 v109, v12, v109                              // 000000007F78: 0ADADB0C
	v_mul_f32_e32 v110, v12, v110                              // 000000007F7C: 0ADCDD0C
	v_mul_f32_e32 v111, v12, v111                              // 000000007F80: 0ADEDF0C
	v_mul_f32_e32 v112, v12, v112                              // 000000007F84: 0AE0E10C
	v_mul_f32_e32 v113, v12, v113                              // 000000007F88: 0AE2E30C
	v_mul_f32_e32 v114, v12, v114                              // 000000007F8C: 0AE4E50C
	v_mul_f32_e32 v115, v12, v115                              // 000000007F90: 0AE6E70C
	v_mul_f32_e32 v116, v12, v116                              // 000000007F94: 0AE8E90C
	v_mul_f32_e32 v117, v12, v117                              // 000000007F98: 0AEAEB0C
	v_mul_f32_e32 v118, v12, v118                              // 000000007F9C: 0AECED0C
	v_mul_f32_e32 v119, v12, v119                              // 000000007FA0: 0AEEEF0C
	v_mul_f32_e32 v120, v12, v120                              // 000000007FA4: 0AF0F10C
	v_mul_f32_e32 v121, v12, v121                              // 000000007FA8: 0AF2F30C
	v_mul_f32_e32 v122, v12, v122                              // 000000007FAC: 0AF4F50C
	v_mul_f32_e32 v123, v12, v123                              // 000000007FB0: 0AF6F70C
	v_mul_f32_e32 v124, v12, v124                              // 000000007FB4: 0AF8F90C
	v_mul_f32_e32 v125, v12, v125                              // 000000007FB8: 0AFAFB0C
	v_mul_f32_e32 v126, v12, v126                              // 000000007FBC: 0AFCFD0C
	v_mul_f32_e32 v127, v12, v127                              // 000000007FC0: 0AFEFF0C
	v_mul_f32_e32 v128, v12, v128                              // 000000007FC4: 0B01010C
	v_mul_f32_e32 v129, v12, v129                              // 000000007FC8: 0B03030C
	v_mul_f32_e32 v130, v12, v130                              // 000000007FCC: 0B05050C
	v_mul_f32_e32 v131, v12, v131                              // 000000007FD0: 0B07070C
	v_mul_f32_e32 v132, v12, v132                              // 000000007FD4: 0B09090C
	v_mul_f32_e32 v133, v12, v133                              // 000000007FD8: 0B0B0B0C
	v_mul_f32_e32 v134, v12, v134                              // 000000007FDC: 0B0D0D0C
	v_mul_f32_e32 v135, v12, v135                              // 000000007FE0: 0B0F0F0C
	v_mul_f32_e32 v136, v12, v136                              // 000000007FE4: 0B11110C
	v_mul_f32_e32 v137, v12, v137                              // 000000007FE8: 0B13130C
	v_mul_f32_e32 v138, v12, v138                              // 000000007FEC: 0B15150C
	v_mul_f32_e32 v139, v12, v139                              // 000000007FF0: 0B17170C
	v_mul_f32_e32 v140, v12, v140                              // 000000007FF4: 0B19190C
	v_mul_f32_e32 v141, v12, v141                              // 000000007FF8: 0B1B1B0C
	v_mul_f32_e32 v142, v12, v142                              // 000000007FFC: 0B1D1D0C
	v_mul_f32_e32 v143, v12, v143                              // 000000008000: 0B1F1F0C
	v_mul_f32_e32 v144, v12, v144                              // 000000008004: 0B21210C
	v_mul_f32_e32 v145, v12, v145                              // 000000008008: 0B23230C
	v_mul_f32_e32 v146, v12, v146                              // 00000000800C: 0B25250C
	v_mul_f32_e32 v147, v12, v147                              // 000000008010: 0B27270C
	v_mul_f32_e32 v148, v12, v148                              // 000000008014: 0B29290C
	v_mul_f32_e32 v149, v12, v149                              // 000000008018: 0B2B2B0C
	v_mul_f32_e32 v150, v12, v150                              // 00000000801C: 0B2D2D0C
	v_mul_f32_e32 v151, v12, v151                              // 000000008020: 0B2F2F0C
	v_mul_f32_e32 v152, v12, v152                              // 000000008024: 0B31310C
	v_mul_f32_e32 v153, v12, v153                              // 000000008028: 0B33330C
	v_mul_f32_e32 v154, v12, v154                              // 00000000802C: 0B35350C
	v_mul_f32_e32 v155, v12, v155                              // 000000008030: 0B37370C
	v_mul_f32_e32 v156, v12, v156                              // 000000008034: 0B39390C
	v_mul_f32_e32 v157, v12, v157                              // 000000008038: 0B3B3B0C
	v_mul_f32_e32 v158, v12, v158                              // 00000000803C: 0B3D3D0C
	v_mul_f32_e32 v159, v12, v159                              // 000000008040: 0B3F3F0C
	v_mul_f32_e32 v160, v12, v160                              // 000000008044: 0B41410C
	v_mul_f32_e32 v161, v12, v161                              // 000000008048: 0B43430C
	v_mfma_f32_16x16x32_bf16 v[34:37], a[144:147], v[26:29], v[34:37]// 00000000804C: D3B50022 0C8A3590
	v_mfma_f32_16x16x32_bf16 v[38:41], a[148:151], v[26:29], v[38:41]// 000000008054: D3B50026 0C9A3594
	v_mfma_f32_16x16x32_bf16 v[42:45], a[152:155], v[26:29], v[42:45]// 00000000805C: D3B5002A 0CAA3598
	v_mfma_f32_16x16x32_bf16 v[46:49], a[156:159], v[26:29], v[46:49]// 000000008064: D3B5002E 0CBA359C
	v_mfma_f32_16x16x32_bf16 v[50:53], a[160:163], v[26:29], v[50:53]// 00000000806C: D3B50032 0CCA35A0
	v_mfma_f32_16x16x32_bf16 v[54:57], a[164:167], v[26:29], v[54:57]// 000000008074: D3B50036 0CDA35A4
	v_mfma_f32_16x16x32_bf16 v[58:61], a[168:171], v[26:29], v[58:61]// 00000000807C: D3B5003A 0CEA35A8
	v_mfma_f32_16x16x32_bf16 v[62:65], a[172:175], v[26:29], v[62:65]// 000000008084: D3B5003E 0CFA35AC
	v_mfma_f32_16x16x32_bf16 v[66:69], a[176:179], v[26:29], v[66:69]// 00000000808C: D3B50042 0D0A35B0
	v_mfma_f32_16x16x32_bf16 v[70:73], a[180:183], v[26:29], v[70:73]// 000000008094: D3B50046 0D1A35B4
	v_mfma_f32_16x16x32_bf16 v[74:77], a[184:187], v[26:29], v[74:77]// 00000000809C: D3B5004A 0D2A35B8
	ds_read_b64_tr_b16 a[144:145], v8 offset:8192              // 0000000080A4: DBC62000 90000008
	ds_read_b64_tr_b16 a[146:147], v8 offset:8448              // 0000000080AC: DBC62100 92000008
	ds_read_b64_tr_b16 a[148:149], v9 offset:8192              // 0000000080B4: DBC62000 94000009
	ds_read_b64_tr_b16 a[150:151], v9 offset:8448              // 0000000080BC: DBC62100 96000009
	v_mfma_f32_16x16x32_bf16 v[78:81], a[188:191], v[26:29], v[78:81]// 0000000080C4: D3B5004E 0D3A35BC
	ds_read_b64_tr_b16 a[152:153], v8 offset:9216              // 0000000080CC: DBC62400 98000008
	ds_read_b64_tr_b16 a[154:155], v8 offset:9472              // 0000000080D4: DBC62500 9A000008
	ds_read_b64_tr_b16 a[156:157], v9 offset:9216              // 0000000080DC: DBC62400 9C000009
	ds_read_b64_tr_b16 a[158:159], v9 offset:9472              // 0000000080E4: DBC62500 9E000009
	v_mfma_f32_16x16x32_bf16 v[82:85], a[192:195], v[26:29], v[82:85]// 0000000080EC: D3B50052 0D4A35C0
	ds_read_b64_tr_b16 a[160:161], v8 offset:10240             // 0000000080F4: DBC62800 A0000008
	ds_read_b64_tr_b16 a[162:163], v8 offset:10496             // 0000000080FC: DBC62900 A2000008
	ds_read_b64_tr_b16 a[164:165], v9 offset:10240             // 000000008104: DBC62800 A4000009
	ds_read_b64_tr_b16 a[166:167], v9 offset:10496             // 00000000810C: DBC62900 A6000009
	v_mfma_f32_16x16x32_bf16 v[86:89], a[196:199], v[26:29], v[86:89]// 000000008114: D3B50056 0D5A35C4
	ds_read_b64_tr_b16 a[168:169], v8 offset:11264             // 00000000811C: DBC62C00 A8000008
	ds_read_b64_tr_b16 a[170:171], v8 offset:11520             // 000000008124: DBC62D00 AA000008
	ds_read_b64_tr_b16 a[172:173], v9 offset:11264             // 00000000812C: DBC62C00 AC000009
	ds_read_b64_tr_b16 a[174:175], v9 offset:11520             // 000000008134: DBC62D00 AE000009
	v_mfma_f32_16x16x32_bf16 v[90:93], a[200:203], v[26:29], v[90:93]// 00000000813C: D3B5005A 0D6A35C8
	ds_read_b64_tr_b16 a[176:177], v8 offset:12288             // 000000008144: DBC63000 B0000008
	ds_read_b64_tr_b16 a[178:179], v8 offset:12544             // 00000000814C: DBC63100 B2000008
	ds_read_b64_tr_b16 a[180:181], v9 offset:12288             // 000000008154: DBC63000 B4000009
	ds_read_b64_tr_b16 a[182:183], v9 offset:12544             // 00000000815C: DBC63100 B6000009
	v_mfma_f32_16x16x32_bf16 v[94:97], a[204:207], v[26:29], v[94:97]// 000000008164: D3B5005E 0D7A35CC
	ds_read_b64_tr_b16 a[184:185], v8 offset:13312             // 00000000816C: DBC63400 B8000008
	ds_read_b64_tr_b16 a[186:187], v8 offset:13568             // 000000008174: DBC63500 BA000008
	ds_read_b64_tr_b16 a[188:189], v9 offset:13312             // 00000000817C: DBC63400 BC000009
	ds_read_b64_tr_b16 a[190:191], v9 offset:13568             // 000000008184: DBC63500 BE000009
	ds_read_b64_tr_b16 a[192:193], v8 offset:14336             // 00000000818C: DBC63800 C0000008
	ds_read_b64_tr_b16 a[194:195], v8 offset:14592             // 000000008194: DBC63900 C2000008
	ds_read_b64_tr_b16 a[196:197], v9 offset:14336             // 00000000819C: DBC63800 C4000009
	ds_read_b64_tr_b16 a[198:199], v9 offset:14592             // 0000000081A4: DBC63900 C6000009
	ds_read_b64_tr_b16 a[200:201], v8 offset:15360             // 0000000081AC: DBC63C00 C8000008
	ds_read_b64_tr_b16 a[202:203], v8 offset:15616             // 0000000081B4: DBC63D00 CA000008
	ds_read_b64_tr_b16 a[204:205], v9 offset:15360             // 0000000081BC: DBC63C00 CC000009
	ds_read_b64_tr_b16 a[206:207], v9 offset:15616             // 0000000081C4: DBC63D00 CE000009
	s_waitcnt lgkmcnt(0)                                       // 0000000081CC: BF8CC07F
	v_mfma_f32_16x16x32_bf16 v[98:101], a[144:147], v[26:29], v[98:101]// 0000000081D0: D3B50062 0D8A3590
	v_mfma_f32_16x16x32_bf16 v[102:105], a[148:151], v[26:29], v[102:105]// 0000000081D8: D3B50066 0D9A3594
	v_mfma_f32_16x16x32_bf16 v[106:109], a[152:155], v[26:29], v[106:109]// 0000000081E0: D3B5006A 0DAA3598
	v_mfma_f32_16x16x32_bf16 v[110:113], a[156:159], v[26:29], v[110:113]// 0000000081E8: D3B5006E 0DBA359C
	v_mfma_f32_16x16x32_bf16 v[114:117], a[160:163], v[26:29], v[114:117]// 0000000081F0: D3B50072 0DCA35A0
	v_mfma_f32_16x16x32_bf16 v[118:121], a[164:167], v[26:29], v[118:121]// 0000000081F8: D3B50076 0DDA35A4
	v_mfma_f32_16x16x32_bf16 v[122:125], a[168:171], v[26:29], v[122:125]// 000000008200: D3B5007A 0DEA35A8
	v_mfma_f32_16x16x32_bf16 v[126:129], a[172:175], v[26:29], v[126:129]// 000000008208: D3B5007E 0DFA35AC
	v_mfma_f32_16x16x32_bf16 v[130:133], a[176:179], v[26:29], v[130:133]// 000000008210: D3B50082 0E0A35B0
	v_mfma_f32_16x16x32_bf16 v[134:137], a[180:183], v[26:29], v[134:137]// 000000008218: D3B50086 0E1A35B4
	v_mfma_f32_16x16x32_bf16 v[138:141], a[184:187], v[26:29], v[138:141]// 000000008220: D3B5008A 0E2A35B8
	v_mfma_f32_16x16x32_bf16 v[142:145], a[188:191], v[26:29], v[142:145]// 000000008228: D3B5008E 0E3A35BC
	v_mfma_f32_16x16x32_bf16 v[146:149], a[192:195], v[26:29], v[146:149]// 000000008230: D3B50092 0E4A35C0
	v_mfma_f32_16x16x32_bf16 v[150:153], a[196:199], v[26:29], v[150:153]// 000000008238: D3B50096 0E5A35C4
	v_mfma_f32_16x16x32_bf16 v[154:157], a[200:203], v[26:29], v[154:157]// 000000008240: D3B5009A 0E6A35C8
	v_mfma_f32_16x16x32_bf16 v[158:161], a[204:207], v[26:29], v[158:161]// 000000008248: D3B5009E 0E7A35CC
	s_nop 8                                                    // 000000008250: BF800008
	s_branch label_6B5C                                        // 000000008254: BF82027F

0000000000008258 <label_5F58>:
	s_waitcnt lgkmcnt(10)                                      // 000000008258: BF8CCA7F
	v_mfma_f32_16x16x32_bf16 v[26:29], a[72:75], a[0:3], 0     // 00000000825C: D3B5001A 1A020148
	ds_read_b128 a[72:75], v16 offset:18432                    // 000000008264: DBFE4800 48000010
	v_mfma_f32_16x16x32_bf16 v[26:29], a[76:79], a[4:7], v[26:29]// 00000000826C: D3B5001A 1C6A094C
	ds_read_b128 a[76:79], v16 offset:19456                    // 000000008274: DBFE4C00 4C000010
	v_mfma_f32_16x16x32_bf16 v[26:29], a[80:83], a[8:11], v[26:29]// 00000000827C: D3B5001A 1C6A1150
	ds_read_b128 a[80:83], v16 offset:20480                    // 000000008284: DBFE5000 50000010
	v_mfma_f32_16x16x32_bf16 v[26:29], a[84:87], a[12:15], v[26:29]// 00000000828C: D3B5001A 1C6A1954
	ds_read_b128 a[84:87], v16 offset:21504                    // 000000008294: DBFE5400 54000010
	v_mfma_f32_16x16x32_bf16 v[26:29], a[88:91], a[16:19], v[26:29]// 00000000829C: D3B5001A 1C6A2158
	ds_read_b128 a[88:91], v16 offset:22528                    // 0000000082A4: DBFE5800 58000010
	v_mfma_f32_16x16x32_bf16 v[26:29], a[92:95], a[20:23], v[26:29]// 0000000082AC: D3B5001A 1C6A295C
	ds_read_b128 a[92:95], v16 offset:23552                    // 0000000082B4: DBFE5C00 5C000010
	v_mfma_f32_16x16x32_bf16 v[26:29], a[96:99], a[24:27], v[26:29]// 0000000082BC: D3B5001A 1C6A3160
	ds_read_b128 a[96:99], v16 offset:24576                    // 0000000082C4: DBFE6000 60000010
	v_mfma_f32_16x16x32_bf16 v[26:29], a[100:103], a[28:31], v[26:29]// 0000000082CC: D3B5001A 1C6A3964
	ds_read_b128 a[100:103], v16 offset:25600                  // 0000000082D4: DBFE6400 64000010
	v_mfma_f32_16x16x32_bf16 v[26:29], a[104:107], a[32:35], v[26:29]// 0000000082DC: D3B5001A 1C6A4168
	ds_read_b128 a[104:107], v16 offset:26624                  // 0000000082E4: DBFE6800 68000010
	v_mfma_f32_16x16x32_bf16 v[26:29], a[108:111], a[36:39], v[26:29]// 0000000082EC: D3B5001A 1C6A496C
	ds_read_b128 a[108:111], v16 offset:27648                  // 0000000082F4: DBFE6C00 6C000010
	v_mfma_f32_16x16x32_bf16 v[26:29], a[112:115], a[40:43], v[26:29]// 0000000082FC: D3B5001A 1C6A5170
	ds_read_b128 a[112:115], v16 offset:28672                  // 000000008304: DBFE7000 70000010
	v_mfma_f32_16x16x32_bf16 v[26:29], a[116:119], a[44:47], v[26:29]// 00000000830C: D3B5001A 1C6A5974
	ds_read_b128 a[116:119], v16 offset:29696                  // 000000008314: DBFE7400 74000010
	v_mfma_f32_16x16x32_bf16 v[26:29], a[120:123], a[48:51], v[26:29]// 00000000831C: D3B5001A 1C6A6178
	ds_read_b128 a[120:123], v16 offset:30720                  // 000000008324: DBFE7800 78000010
	v_mfma_f32_16x16x32_bf16 v[26:29], a[124:127], a[52:55], v[26:29]// 00000000832C: D3B5001A 1C6A697C
	ds_read_b128 a[124:127], v16 offset:31744                  // 000000008334: DBFE7C00 7C000010
	v_mfma_f32_16x16x32_bf16 v[26:29], a[128:131], a[56:59], v[26:29]// 00000000833C: D3B5001A 1C6A7180
	ds_read_b128 a[128:131], v16 offset:32768                  // 000000008344: DBFE8000 80000010
	v_mfma_f32_16x16x32_bf16 v[26:29], a[132:135], a[60:63], v[26:29]// 00000000834C: D3B5001A 1C6A7984
	ds_read_b128 a[132:135], v16 offset:33792                  // 000000008354: DBFE8400 84000010
	v_mfma_f32_16x16x32_bf16 v[26:29], a[136:139], a[64:67], v[26:29]// 00000000835C: D3B5001A 1C6A8188
	ds_read_b128 a[136:139], v16 offset:34816                  // 000000008364: DBFE8800 88000010
	v_mfma_f32_16x16x32_bf16 v[26:29], a[140:143], a[68:71], v[26:29]// 00000000836C: D3B5001A 1C6A898C
	ds_read_b128 a[140:143], v16 offset:35840                  // 000000008374: DBFE8C00 8C000010
	s_waitcnt lgkmcnt(10)                                      // 00000000837C: BF8CCA7F
	v_mfma_f32_16x16x32_bf16 v[30:33], a[72:75], a[0:3], 0     // 000000008380: D3B5001E 1A020148
	ds_read_b64_tr_b16 a[144:145], v10                         // 000000008388: DBC60000 9000000A
	ds_read_b64_tr_b16 a[146:147], v10 offset:256              // 000000008390: DBC60100 9200000A
	ds_read_b64_tr_b16 a[148:149], v11                         // 000000008398: DBC60000 9400000B
	ds_read_b64_tr_b16 a[150:151], v11 offset:256              // 0000000083A0: DBC60100 9600000B
	v_mfma_f32_16x16x32_bf16 v[30:33], a[76:79], a[4:7], v[30:33]// 0000000083A8: D3B5001E 1C7A094C
	ds_read_b64_tr_b16 a[152:153], v10 offset:1024             // 0000000083B0: DBC60400 9800000A
	ds_read_b64_tr_b16 a[154:155], v10 offset:1280             // 0000000083B8: DBC60500 9A00000A
	ds_read_b64_tr_b16 a[156:157], v11 offset:1024             // 0000000083C0: DBC60400 9C00000B
	ds_read_b64_tr_b16 a[158:159], v11 offset:1280             // 0000000083C8: DBC60500 9E00000B
	v_mfma_f32_16x16x32_bf16 v[30:33], a[80:83], a[8:11], v[30:33]// 0000000083D0: D3B5001E 1C7A1150
	ds_read_b64_tr_b16 a[160:161], v10 offset:2048             // 0000000083D8: DBC60800 A000000A
	ds_read_b64_tr_b16 a[162:163], v10 offset:2304             // 0000000083E0: DBC60900 A200000A
	ds_read_b64_tr_b16 a[164:165], v11 offset:2048             // 0000000083E8: DBC60800 A400000B
	ds_read_b64_tr_b16 a[166:167], v11 offset:2304             // 0000000083F0: DBC60900 A600000B
	v_mfma_f32_16x16x32_bf16 v[30:33], a[84:87], a[12:15], v[30:33]// 0000000083F8: D3B5001E 1C7A1954
	ds_read_b64_tr_b16 a[168:169], v10 offset:3072             // 000000008400: DBC60C00 A800000A
	ds_read_b64_tr_b16 a[170:171], v10 offset:3328             // 000000008408: DBC60D00 AA00000A
	ds_read_b64_tr_b16 a[172:173], v11 offset:3072             // 000000008410: DBC60C00 AC00000B
	ds_read_b64_tr_b16 a[174:175], v11 offset:3328             // 000000008418: DBC60D00 AE00000B
	v_mfma_f32_16x16x32_bf16 v[30:33], a[88:91], a[16:19], v[30:33]// 000000008420: D3B5001E 1C7A2158
	ds_read_b64_tr_b16 a[176:177], v10 offset:4096             // 000000008428: DBC61000 B000000A
	ds_read_b64_tr_b16 a[178:179], v10 offset:4352             // 000000008430: DBC61100 B200000A
	ds_read_b64_tr_b16 a[180:181], v11 offset:4096             // 000000008438: DBC61000 B400000B
	ds_read_b64_tr_b16 a[182:183], v11 offset:4352             // 000000008440: DBC61100 B600000B
	v_mfma_f32_16x16x32_bf16 v[30:33], a[92:95], a[20:23], v[30:33]// 000000008448: D3B5001E 1C7A295C
	ds_read_b64_tr_b16 a[184:185], v10 offset:5120             // 000000008450: DBC61400 B800000A
	ds_read_b64_tr_b16 a[186:187], v10 offset:5376             // 000000008458: DBC61500 BA00000A
	ds_read_b64_tr_b16 a[188:189], v11 offset:5120             // 000000008460: DBC61400 BC00000B
	ds_read_b64_tr_b16 a[190:191], v11 offset:5376             // 000000008468: DBC61500 BE00000B
	v_mfma_f32_16x16x32_bf16 v[30:33], a[96:99], a[24:27], v[30:33]// 000000008470: D3B5001E 1C7A3160
	ds_read_b64_tr_b16 a[192:193], v10 offset:6144             // 000000008478: DBC61800 C000000A
	ds_read_b64_tr_b16 a[194:195], v10 offset:6400             // 000000008480: DBC61900 C200000A
	ds_read_b64_tr_b16 a[196:197], v11 offset:6144             // 000000008488: DBC61800 C400000B
	ds_read_b64_tr_b16 a[198:199], v11 offset:6400             // 000000008490: DBC61900 C600000B
	v_mfma_f32_16x16x32_bf16 v[30:33], a[100:103], a[28:31], v[30:33]// 000000008498: D3B5001E 1C7A3964
	ds_read_b64_tr_b16 a[200:201], v10 offset:7168             // 0000000084A0: DBC61C00 C800000A
	ds_read_b64_tr_b16 a[202:203], v10 offset:7424             // 0000000084A8: DBC61D00 CA00000A
	ds_read_b64_tr_b16 a[204:205], v11 offset:7168             // 0000000084B0: DBC61C00 CC00000B
	ds_read_b64_tr_b16 a[206:207], v11 offset:7424             // 0000000084B8: DBC61D00 CE00000B
	v_mfma_f32_16x16x32_bf16 v[30:33], a[104:107], a[32:35], v[30:33]// 0000000084C0: D3B5001E 1C7A4168
	v_mfma_f32_16x16x32_bf16 v[30:33], a[108:111], a[36:39], v[30:33]// 0000000084C8: D3B5001E 1C7A496C
	v_mfma_f32_16x16x32_bf16 v[30:33], a[112:115], a[40:43], v[30:33]// 0000000084D0: D3B5001E 1C7A5170
	v_mfma_f32_16x16x32_bf16 v[30:33], a[116:119], a[44:47], v[30:33]// 0000000084D8: D3B5001E 1C7A5974
	v_mfma_f32_16x16x32_bf16 v[30:33], a[120:123], a[48:51], v[30:33]// 0000000084E0: D3B5001E 1C7A6178
	v_mfma_f32_16x16x32_bf16 v[30:33], a[124:127], a[52:55], v[30:33]// 0000000084E8: D3B5001E 1C7A697C
	v_mfma_f32_16x16x32_bf16 v[30:33], a[128:131], a[56:59], v[30:33]// 0000000084F0: D3B5001E 1C7A7180
	v_mfma_f32_16x16x32_bf16 v[30:33], a[132:135], a[60:63], v[30:33]// 0000000084F8: D3B5001E 1C7A7984
	v_mfma_f32_16x16x32_bf16 v[30:33], a[136:139], a[64:67], v[30:33]// 000000008500: D3B5001E 1C7A8188
	v_mfma_f32_16x16x32_bf16 v[30:33], a[140:143], a[68:71], v[30:33]// 000000008508: D3B5001E 1C7A898C
	s_nop 8                                                    // 000000008510: BF800008
	s_and_b32 s56, s48, 0xff                                   // 000000008514: 8638FF30 000000FF
	v_mov_b32_e32 v23, s56                                     // 00000000851C: 7E2E0238
	v_lshrrev_b32_e32 v162, 4, v0                              // 000000008520: 21440084
	v_mul_i32_i24_e32 v162, 4, v162                            // 000000008524: 0D454484
	v_add_u32_e32 v163, 1, v162                                // 000000008528: 69474481
	v_add_u32_e32 v164, 2, v162                                // 00000000852C: 69494482
	v_add_u32_e32 v165, 3, v162                                // 000000008530: 694B4483
	v_mov_b32_e32 v22, 0xff800000                              // 000000008534: 7E2C02FF FF800000
	v_cmp_lt_u32_e64 s[36:37], v162, v23                       // 00000000853C: D0C90024 00022FA2
	v_add_u32_e32 v162, 16, v162                               // 000000008544: 69454490
	s_nop 0                                                    // 000000008548: BF800000
	v_cndmask_b32_e64 v26, v22, v26, s[36:37]                  // 00000000854C: D100001A 00923516
	v_cmp_lt_u32_e64 s[36:37], v163, v23                       // 000000008554: D0C90024 00022FA3
	v_add_u32_e32 v163, 16, v163                               // 00000000855C: 69474690
	s_nop 0                                                    // 000000008560: BF800000
	v_cndmask_b32_e64 v27, v22, v27, s[36:37]                  // 000000008564: D100001B 00923716
	v_cmp_lt_u32_e64 s[36:37], v164, v23                       // 00000000856C: D0C90024 00022FA4
	v_add_u32_e32 v164, 16, v164                               // 000000008574: 69494890
	s_nop 0                                                    // 000000008578: BF800000
	v_cndmask_b32_e64 v28, v22, v28, s[36:37]                  // 00000000857C: D100001C 00923916
	v_cmp_lt_u32_e64 s[36:37], v165, v23                       // 000000008584: D0C90024 00022FA5
	v_add_u32_e32 v165, 16, v165                               // 00000000858C: 694B4A90
	s_nop 0                                                    // 000000008590: BF800000
	v_cndmask_b32_e64 v29, v22, v29, s[36:37]                  // 000000008594: D100001D 00923B16
	v_cmp_lt_u32_e64 s[36:37], v162, v23                       // 00000000859C: D0C90024 00022FA2
	v_add_u32_e32 v162, 16, v162                               // 0000000085A4: 69454490
	s_nop 0                                                    // 0000000085A8: BF800000
	v_cndmask_b32_e64 v30, v22, v30, s[36:37]                  // 0000000085AC: D100001E 00923D16
	v_cmp_lt_u32_e64 s[36:37], v163, v23                       // 0000000085B4: D0C90024 00022FA3
	v_add_u32_e32 v163, 16, v163                               // 0000000085BC: 69474690
	s_nop 0                                                    // 0000000085C0: BF800000
	v_cndmask_b32_e64 v31, v22, v31, s[36:37]                  // 0000000085C4: D100001F 00923F16
	v_cmp_lt_u32_e64 s[36:37], v164, v23                       // 0000000085CC: D0C90024 00022FA4
	v_add_u32_e32 v164, 16, v164                               // 0000000085D4: 69494890
	s_nop 0                                                    // 0000000085D8: BF800000
	v_cndmask_b32_e64 v32, v22, v32, s[36:37]                  // 0000000085DC: D1000020 00924116
	v_cmp_lt_u32_e64 s[36:37], v165, v23                       // 0000000085E4: D0C90024 00022FA5
	v_add_u32_e32 v165, 16, v165                               // 0000000085EC: 694B4A90
	s_nop 0                                                    // 0000000085F0: BF800000
	v_cndmask_b32_e64 v33, v22, v33, s[36:37]                  // 0000000085F4: D1000021 00924316
	s_cmp_le_i32 s83, s82                                      // 0000000085FC: BF055253
	s_cbranch_scc1 label_63F8                                  // 000000008600: BF85003D
	v_mov_b32_e32 v22, s82                                     // 000000008604: 7E2C0252
	s_sub_u32 s58, s81, s80                                    // 000000008608: 80BA5051
	s_add_u32 s58, s58, s7                                     // 00000000860C: 803A073A
	v_add_u32_e32 v22, s58, v22                                // 000000008610: 682C2C3A
	s_sub_u32 s56, s83, 31                                     // 000000008614: 80B89F53
	v_lshrrev_b32_e32 v162, 4, v0                              // 000000008618: 21440084
	v_mul_i32_i24_e32 v162, 4, v162                            // 00000000861C: 0D454484
	v_add_u32_e32 v162, s56, v162                              // 000000008620: 69454438
	v_add_u32_e32 v163, 1, v162                                // 000000008624: 69474481
	v_add_u32_e32 v164, 2, v162                                // 000000008628: 69494482
	v_add_u32_e32 v165, 3, v162                                // 00000000862C: 694B4483
	v_mov_b32_e32 v23, 0xff800000                              // 000000008630: 7E2E02FF FF800000
	v_cmp_le_u32_e64 s[36:37], v162, v22                       // 000000008638: D0CB0024 00022DA2
	v_add_u32_e32 v162, 16, v162                               // 000000008640: 69454490
	s_nop 0                                                    // 000000008644: BF800000
	v_cndmask_b32_e64 v26, v23, v26, s[36:37]                  // 000000008648: D100001A 00923517
	v_cmp_le_u32_e64 s[36:37], v163, v22                       // 000000008650: D0CB0024 00022DA3
	v_add_u32_e32 v163, 16, v163                               // 000000008658: 69474690
	s_nop 0                                                    // 00000000865C: BF800000
	v_cndmask_b32_e64 v27, v23, v27, s[36:37]                  // 000000008660: D100001B 00923717
	v_cmp_le_u32_e64 s[36:37], v164, v22                       // 000000008668: D0CB0024 00022DA4
	v_add_u32_e32 v164, 16, v164                               // 000000008670: 69494890
	s_nop 0                                                    // 000000008674: BF800000
	v_cndmask_b32_e64 v28, v23, v28, s[36:37]                  // 000000008678: D100001C 00923917
	v_cmp_le_u32_e64 s[36:37], v165, v22                       // 000000008680: D0CB0024 00022DA5
	v_add_u32_e32 v165, 16, v165                               // 000000008688: 694B4A90
	s_nop 0                                                    // 00000000868C: BF800000
	v_cndmask_b32_e64 v29, v23, v29, s[36:37]                  // 000000008690: D100001D 00923B17
	v_cmp_le_u32_e64 s[36:37], v162, v22                       // 000000008698: D0CB0024 00022DA2
	v_add_u32_e32 v162, 16, v162                               // 0000000086A0: 69454490
	s_nop 0                                                    // 0000000086A4: BF800000
	v_cndmask_b32_e64 v30, v23, v30, s[36:37]                  // 0000000086A8: D100001E 00923D17
	v_cmp_le_u32_e64 s[36:37], v163, v22                       // 0000000086B0: D0CB0024 00022DA3
	v_add_u32_e32 v163, 16, v163                               // 0000000086B8: 69474690
	s_nop 0                                                    // 0000000086BC: BF800000
	v_cndmask_b32_e64 v31, v23, v31, s[36:37]                  // 0000000086C0: D100001F 00923F17
	v_cmp_le_u32_e64 s[36:37], v164, v22                       // 0000000086C8: D0CB0024 00022DA4
	v_add_u32_e32 v164, 16, v164                               // 0000000086D0: 69494890
	s_nop 0                                                    // 0000000086D4: BF800000
	v_cndmask_b32_e64 v32, v23, v32, s[36:37]                  // 0000000086D8: D1000020 00924117
	v_cmp_le_u32_e64 s[36:37], v165, v22                       // 0000000086E0: D0CB0024 00022DA5
	v_add_u32_e32 v165, 16, v165                               // 0000000086E8: 694B4A90
	s_nop 0                                                    // 0000000086EC: BF800000
	v_cndmask_b32_e64 v33, v23, v33, s[36:37]                  // 0000000086F0: D1000021 00924317

00000000000086f8 <label_63F8>:
	s_add_u32 s83, s84, s83                                    // 0000000086F8: 80535354
	s_nop 2                                                    // 0000000086FC: BF800002
	v_mov_b32_e32 v23, v26                                     // 000000008700: 7E2E031A
	v_max3_f32 v23, v26, v27, v23                              // 000000008704: D1D30017 045E371A
	v_max3_f32 v23, v28, v29, v23                              // 00000000870C: D1D30017 045E3B1C
	v_max3_f32 v23, v30, v31, v23                              // 000000008714: D1D30017 045E3F1E
	v_max3_f32 v23, v32, v33, v23                              // 00000000871C: D1D30017 045E4320
	v_mov_b32_e32 v22, v23                                     // 000000008724: 7E2C0317
	v_mov_b32_e32 v23, v23                                     // 000000008728: 7E2E0317
	s_nop 1                                                    // 00000000872C: BF800001
	v_permlane16_swap_b32_e32 v22, v23                         // 000000008730: 7E2CB317
	v_mov_b32_e32 v25, v22                                     // 000000008734: 7E320316
	v_mov_b32_e32 v24, v23                                     // 000000008738: 7E300317
	s_nop 1                                                    // 00000000873C: BF800001
	v_permlane32_swap_b32_e32 v22, v23                         // 000000008740: 7E2CB517
	v_permlane32_swap_b32_e32 v24, v25                         // 000000008744: 7E30B519
	v_max3_f32 v23, v22, v23, v23                              // 000000008748: D1D30017 045E2F16
	v_max3_f32 v23, v24, v25, v23                              // 000000008750: D1D30017 045E3318
	v_mov_b32_e32 v22, 0xff800000                              // 000000008758: 7E2C02FF FF800000
	v_cmp_eq_u32_e64 s[36:37], v22, v2                         // 000000008760: D0CA0024 00020516
	v_max_f32_e32 v23, v23, v2                                 // 000000008768: 162E0517
	v_sub_f32_e32 v12, v2, v23                                 // 00000000876C: 04182F02
	v_cndmask_b32_e64 v12, v12, 0, s[36:37]                    // 000000008770: D100000C 0091010C
	v_mov_b32_e32 v2, v23                                      // 000000008778: 7E040317
	v_mul_f32_e32 v23, s5, v23                                 // 00000000877C: 0A2E2E05
	v_mul_f32_e32 v12, s5, v12                                 // 000000008780: 0A181805
	v_exp_f32_e32 v12, v12                                     // 000000008784: 7E18410C
	v_fma_f32 v26, v26, s5, -v23                               // 000000008788: D1CB001A 845C0B1A
	v_fma_f32 v27, v27, s5, -v23                               // 000000008790: D1CB001B 845C0B1B
	v_fma_f32 v28, v28, s5, -v23                               // 000000008798: D1CB001C 845C0B1C
	v_fma_f32 v29, v29, s5, -v23                               // 0000000087A0: D1CB001D 845C0B1D
	v_fma_f32 v30, v30, s5, -v23                               // 0000000087A8: D1CB001E 845C0B1E
	v_fma_f32 v31, v31, s5, -v23                               // 0000000087B0: D1CB001F 845C0B1F
	v_fma_f32 v32, v32, s5, -v23                               // 0000000087B8: D1CB0020 845C0B20
	v_fma_f32 v33, v33, s5, -v23                               // 0000000087C0: D1CB0021 845C0B21
	v_exp_f32_e32 v26, v26                                     // 0000000087C8: 7E34411A
	v_exp_f32_e32 v27, v27                                     // 0000000087CC: 7E36411B
	v_exp_f32_e32 v28, v28                                     // 0000000087D0: 7E38411C
	v_exp_f32_e32 v29, v29                                     // 0000000087D4: 7E3A411D
	v_exp_f32_e32 v30, v30                                     // 0000000087D8: 7E3C411E
	v_exp_f32_e32 v31, v31                                     // 0000000087DC: 7E3E411F
	v_exp_f32_e32 v32, v32                                     // 0000000087E0: 7E404120
	v_exp_f32_e32 v33, v33                                     // 0000000087E4: 7E424121
	v_mul_f32_e32 v4, v12, v4                                  // 0000000087E8: 0A08090C
	v_mov_b32_e32 v22, v26                                     // 0000000087EC: 7E2C031A
	v_add_f32_e32 v22, v27, v22                                // 0000000087F0: 022C2D1B
	v_add_f32_e32 v22, v28, v22                                // 0000000087F4: 022C2D1C
	v_add_f32_e32 v22, v29, v22                                // 0000000087F8: 022C2D1D
	v_add_f32_e32 v22, v30, v22                                // 0000000087FC: 022C2D1E
	v_add_f32_e32 v22, v31, v22                                // 000000008800: 022C2D1F
	v_add_f32_e32 v22, v32, v22                                // 000000008804: 022C2D20
	v_add_f32_e32 v22, v33, v22                                // 000000008808: 022C2D21
	v_add_f32_e32 v4, v22, v4                                  // 00000000880C: 02080916
	v_cvt_pk_bf16_f32 v26, v26, v27                            // 000000008810: D268001A 0002371A
	v_cvt_pk_bf16_f32 v27, v28, v29                            // 000000008818: D268001B 00023B1C
	v_cvt_pk_bf16_f32 v28, v30, v31                            // 000000008820: D268001C 00023F1E
	v_cvt_pk_bf16_f32 v29, v32, v33                            // 000000008828: D268001D 00024320
	s_nop 0                                                    // 000000008830: BF800000
	v_permlane32_swap_b32_e32 v26, v28                         // 000000008834: 7E34B51C
	v_permlane32_swap_b32_e32 v27, v29                         // 000000008838: 7E36B51D
	s_nop 0                                                    // 00000000883C: BF800000
	v_permlane16_swap_b32_e32 v26, v28                         // 000000008840: 7E34B31C
	v_permlane16_swap_b32_e32 v27, v29                         // 000000008844: 7E36B31D
	v_mul_f32_e32 v34, v12, v34                                // 000000008848: 0A44450C
	v_mul_f32_e32 v35, v12, v35                                // 00000000884C: 0A46470C
	v_mul_f32_e32 v36, v12, v36                                // 000000008850: 0A48490C
	v_mul_f32_e32 v37, v12, v37                                // 000000008854: 0A4A4B0C
	v_mul_f32_e32 v38, v12, v38                                // 000000008858: 0A4C4D0C
	v_mul_f32_e32 v39, v12, v39                                // 00000000885C: 0A4E4F0C
	v_mul_f32_e32 v40, v12, v40                                // 000000008860: 0A50510C
	v_mul_f32_e32 v41, v12, v41                                // 000000008864: 0A52530C
	v_mul_f32_e32 v42, v12, v42                                // 000000008868: 0A54550C
	v_mul_f32_e32 v43, v12, v43                                // 00000000886C: 0A56570C
	v_mul_f32_e32 v44, v12, v44                                // 000000008870: 0A58590C
	v_mul_f32_e32 v45, v12, v45                                // 000000008874: 0A5A5B0C
	v_mul_f32_e32 v46, v12, v46                                // 000000008878: 0A5C5D0C
	v_mul_f32_e32 v47, v12, v47                                // 00000000887C: 0A5E5F0C
	v_mul_f32_e32 v48, v12, v48                                // 000000008880: 0A60610C
	v_mul_f32_e32 v49, v12, v49                                // 000000008884: 0A62630C
	v_mul_f32_e32 v50, v12, v50                                // 000000008888: 0A64650C
	v_mul_f32_e32 v51, v12, v51                                // 00000000888C: 0A66670C
	v_mul_f32_e32 v52, v12, v52                                // 000000008890: 0A68690C
	v_mul_f32_e32 v53, v12, v53                                // 000000008894: 0A6A6B0C
	v_mul_f32_e32 v54, v12, v54                                // 000000008898: 0A6C6D0C
	v_mul_f32_e32 v55, v12, v55                                // 00000000889C: 0A6E6F0C
	v_mul_f32_e32 v56, v12, v56                                // 0000000088A0: 0A70710C
	v_mul_f32_e32 v57, v12, v57                                // 0000000088A4: 0A72730C
	v_mul_f32_e32 v58, v12, v58                                // 0000000088A8: 0A74750C
	v_mul_f32_e32 v59, v12, v59                                // 0000000088AC: 0A76770C
	v_mul_f32_e32 v60, v12, v60                                // 0000000088B0: 0A78790C
	v_mul_f32_e32 v61, v12, v61                                // 0000000088B4: 0A7A7B0C
	v_mul_f32_e32 v62, v12, v62                                // 0000000088B8: 0A7C7D0C
	v_mul_f32_e32 v63, v12, v63                                // 0000000088BC: 0A7E7F0C
	v_mul_f32_e32 v64, v12, v64                                // 0000000088C0: 0A80810C
	v_mul_f32_e32 v65, v12, v65                                // 0000000088C4: 0A82830C
	v_mul_f32_e32 v66, v12, v66                                // 0000000088C8: 0A84850C
	v_mul_f32_e32 v67, v12, v67                                // 0000000088CC: 0A86870C
	v_mul_f32_e32 v68, v12, v68                                // 0000000088D0: 0A88890C
	v_mul_f32_e32 v69, v12, v69                                // 0000000088D4: 0A8A8B0C
	v_mul_f32_e32 v70, v12, v70                                // 0000000088D8: 0A8C8D0C
	v_mul_f32_e32 v71, v12, v71                                // 0000000088DC: 0A8E8F0C
	v_mul_f32_e32 v72, v12, v72                                // 0000000088E0: 0A90910C
	v_mul_f32_e32 v73, v12, v73                                // 0000000088E4: 0A92930C
	v_mul_f32_e32 v74, v12, v74                                // 0000000088E8: 0A94950C
	v_mul_f32_e32 v75, v12, v75                                // 0000000088EC: 0A96970C
	v_mul_f32_e32 v76, v12, v76                                // 0000000088F0: 0A98990C
	v_mul_f32_e32 v77, v12, v77                                // 0000000088F4: 0A9A9B0C
	v_mul_f32_e32 v78, v12, v78                                // 0000000088F8: 0A9C9D0C
	v_mul_f32_e32 v79, v12, v79                                // 0000000088FC: 0A9E9F0C
	v_mul_f32_e32 v80, v12, v80                                // 000000008900: 0AA0A10C
	v_mul_f32_e32 v81, v12, v81                                // 000000008904: 0AA2A30C
	v_mul_f32_e32 v82, v12, v82                                // 000000008908: 0AA4A50C
	v_mul_f32_e32 v83, v12, v83                                // 00000000890C: 0AA6A70C
	v_mul_f32_e32 v84, v12, v84                                // 000000008910: 0AA8A90C
	v_mul_f32_e32 v85, v12, v85                                // 000000008914: 0AAAAB0C
	v_mul_f32_e32 v86, v12, v86                                // 000000008918: 0AACAD0C
	v_mul_f32_e32 v87, v12, v87                                // 00000000891C: 0AAEAF0C
	v_mul_f32_e32 v88, v12, v88                                // 000000008920: 0AB0B10C
	v_mul_f32_e32 v89, v12, v89                                // 000000008924: 0AB2B30C
	v_mul_f32_e32 v90, v12, v90                                // 000000008928: 0AB4B50C
	v_mul_f32_e32 v91, v12, v91                                // 00000000892C: 0AB6B70C
	v_mul_f32_e32 v92, v12, v92                                // 000000008930: 0AB8B90C
	v_mul_f32_e32 v93, v12, v93                                // 000000008934: 0ABABB0C
	v_mul_f32_e32 v94, v12, v94                                // 000000008938: 0ABCBD0C
	v_mul_f32_e32 v95, v12, v95                                // 00000000893C: 0ABEBF0C
	v_mul_f32_e32 v96, v12, v96                                // 000000008940: 0AC0C10C
	v_mul_f32_e32 v97, v12, v97                                // 000000008944: 0AC2C30C
	v_mul_f32_e32 v98, v12, v98                                // 000000008948: 0AC4C50C
	v_mul_f32_e32 v99, v12, v99                                // 00000000894C: 0AC6C70C
	v_mul_f32_e32 v100, v12, v100                              // 000000008950: 0AC8C90C
	v_mul_f32_e32 v101, v12, v101                              // 000000008954: 0ACACB0C
	v_mul_f32_e32 v102, v12, v102                              // 000000008958: 0ACCCD0C
	v_mul_f32_e32 v103, v12, v103                              // 00000000895C: 0ACECF0C
	v_mul_f32_e32 v104, v12, v104                              // 000000008960: 0AD0D10C
	v_mul_f32_e32 v105, v12, v105                              // 000000008964: 0AD2D30C
	v_mul_f32_e32 v106, v12, v106                              // 000000008968: 0AD4D50C
	v_mul_f32_e32 v107, v12, v107                              // 00000000896C: 0AD6D70C
	v_mul_f32_e32 v108, v12, v108                              // 000000008970: 0AD8D90C
	v_mul_f32_e32 v109, v12, v109                              // 000000008974: 0ADADB0C
	v_mul_f32_e32 v110, v12, v110                              // 000000008978: 0ADCDD0C
	v_mul_f32_e32 v111, v12, v111                              // 00000000897C: 0ADEDF0C
	v_mul_f32_e32 v112, v12, v112                              // 000000008980: 0AE0E10C
	v_mul_f32_e32 v113, v12, v113                              // 000000008984: 0AE2E30C
	v_mul_f32_e32 v114, v12, v114                              // 000000008988: 0AE4E50C
	v_mul_f32_e32 v115, v12, v115                              // 00000000898C: 0AE6E70C
	v_mul_f32_e32 v116, v12, v116                              // 000000008990: 0AE8E90C
	v_mul_f32_e32 v117, v12, v117                              // 000000008994: 0AEAEB0C
	v_mul_f32_e32 v118, v12, v118                              // 000000008998: 0AECED0C
	v_mul_f32_e32 v119, v12, v119                              // 00000000899C: 0AEEEF0C
	v_mul_f32_e32 v120, v12, v120                              // 0000000089A0: 0AF0F10C
	v_mul_f32_e32 v121, v12, v121                              // 0000000089A4: 0AF2F30C
	v_mul_f32_e32 v122, v12, v122                              // 0000000089A8: 0AF4F50C
	v_mul_f32_e32 v123, v12, v123                              // 0000000089AC: 0AF6F70C
	v_mul_f32_e32 v124, v12, v124                              // 0000000089B0: 0AF8F90C
	v_mul_f32_e32 v125, v12, v125                              // 0000000089B4: 0AFAFB0C
	v_mul_f32_e32 v126, v12, v126                              // 0000000089B8: 0AFCFD0C
	v_mul_f32_e32 v127, v12, v127                              // 0000000089BC: 0AFEFF0C
	v_mul_f32_e32 v128, v12, v128                              // 0000000089C0: 0B01010C
	v_mul_f32_e32 v129, v12, v129                              // 0000000089C4: 0B03030C
	v_mul_f32_e32 v130, v12, v130                              // 0000000089C8: 0B05050C
	v_mul_f32_e32 v131, v12, v131                              // 0000000089CC: 0B07070C
	v_mul_f32_e32 v132, v12, v132                              // 0000000089D0: 0B09090C
	v_mul_f32_e32 v133, v12, v133                              // 0000000089D4: 0B0B0B0C
	v_mul_f32_e32 v134, v12, v134                              // 0000000089D8: 0B0D0D0C
	v_mul_f32_e32 v135, v12, v135                              // 0000000089DC: 0B0F0F0C
	v_mul_f32_e32 v136, v12, v136                              // 0000000089E0: 0B11110C
	v_mul_f32_e32 v137, v12, v137                              // 0000000089E4: 0B13130C
	v_mul_f32_e32 v138, v12, v138                              // 0000000089E8: 0B15150C
	v_mul_f32_e32 v139, v12, v139                              // 0000000089EC: 0B17170C
	v_mul_f32_e32 v140, v12, v140                              // 0000000089F0: 0B19190C
	v_mul_f32_e32 v141, v12, v141                              // 0000000089F4: 0B1B1B0C
	v_mul_f32_e32 v142, v12, v142                              // 0000000089F8: 0B1D1D0C
	v_mul_f32_e32 v143, v12, v143                              // 0000000089FC: 0B1F1F0C
	v_mul_f32_e32 v144, v12, v144                              // 000000008A00: 0B21210C
	v_mul_f32_e32 v145, v12, v145                              // 000000008A04: 0B23230C
	v_mul_f32_e32 v146, v12, v146                              // 000000008A08: 0B25250C
	v_mul_f32_e32 v147, v12, v147                              // 000000008A0C: 0B27270C
	v_mul_f32_e32 v148, v12, v148                              // 000000008A10: 0B29290C
	v_mul_f32_e32 v149, v12, v149                              // 000000008A14: 0B2B2B0C
	v_mul_f32_e32 v150, v12, v150                              // 000000008A18: 0B2D2D0C
	v_mul_f32_e32 v151, v12, v151                              // 000000008A1C: 0B2F2F0C
	v_mul_f32_e32 v152, v12, v152                              // 000000008A20: 0B31310C
	v_mul_f32_e32 v153, v12, v153                              // 000000008A24: 0B33330C
	v_mul_f32_e32 v154, v12, v154                              // 000000008A28: 0B35350C
	v_mul_f32_e32 v155, v12, v155                              // 000000008A2C: 0B37370C
	v_mul_f32_e32 v156, v12, v156                              // 000000008A30: 0B39390C
	v_mul_f32_e32 v157, v12, v157                              // 000000008A34: 0B3B3B0C
	v_mul_f32_e32 v158, v12, v158                              // 000000008A38: 0B3D3D0C
	v_mul_f32_e32 v159, v12, v159                              // 000000008A3C: 0B3F3F0C
	v_mul_f32_e32 v160, v12, v160                              // 000000008A40: 0B41410C
	v_mul_f32_e32 v161, v12, v161                              // 000000008A44: 0B43430C
	v_mfma_f32_16x16x32_bf16 v[34:37], a[144:147], v[26:29], v[34:37]// 000000008A48: D3B50022 0C8A3590
	v_mfma_f32_16x16x32_bf16 v[38:41], a[148:151], v[26:29], v[38:41]// 000000008A50: D3B50026 0C9A3594
	v_mfma_f32_16x16x32_bf16 v[42:45], a[152:155], v[26:29], v[42:45]// 000000008A58: D3B5002A 0CAA3598
	v_mfma_f32_16x16x32_bf16 v[46:49], a[156:159], v[26:29], v[46:49]// 000000008A60: D3B5002E 0CBA359C
	v_mfma_f32_16x16x32_bf16 v[50:53], a[160:163], v[26:29], v[50:53]// 000000008A68: D3B50032 0CCA35A0
	v_mfma_f32_16x16x32_bf16 v[54:57], a[164:167], v[26:29], v[54:57]// 000000008A70: D3B50036 0CDA35A4
	v_mfma_f32_16x16x32_bf16 v[58:61], a[168:171], v[26:29], v[58:61]// 000000008A78: D3B5003A 0CEA35A8
	v_mfma_f32_16x16x32_bf16 v[62:65], a[172:175], v[26:29], v[62:65]// 000000008A80: D3B5003E 0CFA35AC
	v_mfma_f32_16x16x32_bf16 v[66:69], a[176:179], v[26:29], v[66:69]// 000000008A88: D3B50042 0D0A35B0
	v_mfma_f32_16x16x32_bf16 v[70:73], a[180:183], v[26:29], v[70:73]// 000000008A90: D3B50046 0D1A35B4
	v_mfma_f32_16x16x32_bf16 v[74:77], a[184:187], v[26:29], v[74:77]// 000000008A98: D3B5004A 0D2A35B8
	ds_read_b64_tr_b16 a[144:145], v10 offset:8192             // 000000008AA0: DBC62000 9000000A
	ds_read_b64_tr_b16 a[146:147], v10 offset:8448             // 000000008AA8: DBC62100 9200000A
	ds_read_b64_tr_b16 a[148:149], v11 offset:8192             // 000000008AB0: DBC62000 9400000B
	ds_read_b64_tr_b16 a[150:151], v11 offset:8448             // 000000008AB8: DBC62100 9600000B
	v_mfma_f32_16x16x32_bf16 v[78:81], a[188:191], v[26:29], v[78:81]// 000000008AC0: D3B5004E 0D3A35BC
	ds_read_b64_tr_b16 a[152:153], v10 offset:9216             // 000000008AC8: DBC62400 9800000A
	ds_read_b64_tr_b16 a[154:155], v10 offset:9472             // 000000008AD0: DBC62500 9A00000A
	ds_read_b64_tr_b16 a[156:157], v11 offset:9216             // 000000008AD8: DBC62400 9C00000B
	ds_read_b64_tr_b16 a[158:159], v11 offset:9472             // 000000008AE0: DBC62500 9E00000B
	v_mfma_f32_16x16x32_bf16 v[82:85], a[192:195], v[26:29], v[82:85]// 000000008AE8: D3B50052 0D4A35C0
	ds_read_b64_tr_b16 a[160:161], v10 offset:10240            // 000000008AF0: DBC62800 A000000A
	ds_read_b64_tr_b16 a[162:163], v10 offset:10496            // 000000008AF8: DBC62900 A200000A
	ds_read_b64_tr_b16 a[164:165], v11 offset:10240            // 000000008B00: DBC62800 A400000B
	ds_read_b64_tr_b16 a[166:167], v11 offset:10496            // 000000008B08: DBC62900 A600000B
	v_mfma_f32_16x16x32_bf16 v[86:89], a[196:199], v[26:29], v[86:89]// 000000008B10: D3B50056 0D5A35C4
	ds_read_b64_tr_b16 a[168:169], v10 offset:11264            // 000000008B18: DBC62C00 A800000A
	ds_read_b64_tr_b16 a[170:171], v10 offset:11520            // 000000008B20: DBC62D00 AA00000A
	ds_read_b64_tr_b16 a[172:173], v11 offset:11264            // 000000008B28: DBC62C00 AC00000B
	ds_read_b64_tr_b16 a[174:175], v11 offset:11520            // 000000008B30: DBC62D00 AE00000B
	v_mfma_f32_16x16x32_bf16 v[90:93], a[200:203], v[26:29], v[90:93]// 000000008B38: D3B5005A 0D6A35C8
	ds_read_b64_tr_b16 a[176:177], v10 offset:12288            // 000000008B40: DBC63000 B000000A
	ds_read_b64_tr_b16 a[178:179], v10 offset:12544            // 000000008B48: DBC63100 B200000A
	ds_read_b64_tr_b16 a[180:181], v11 offset:12288            // 000000008B50: DBC63000 B400000B
	ds_read_b64_tr_b16 a[182:183], v11 offset:12544            // 000000008B58: DBC63100 B600000B
	v_mfma_f32_16x16x32_bf16 v[94:97], a[204:207], v[26:29], v[94:97]// 000000008B60: D3B5005E 0D7A35CC
	ds_read_b64_tr_b16 a[184:185], v10 offset:13312            // 000000008B68: DBC63400 B800000A
	ds_read_b64_tr_b16 a[186:187], v10 offset:13568            // 000000008B70: DBC63500 BA00000A
	ds_read_b64_tr_b16 a[188:189], v11 offset:13312            // 000000008B78: DBC63400 BC00000B
	ds_read_b64_tr_b16 a[190:191], v11 offset:13568            // 000000008B80: DBC63500 BE00000B
	ds_read_b64_tr_b16 a[192:193], v10 offset:14336            // 000000008B88: DBC63800 C000000A
	ds_read_b64_tr_b16 a[194:195], v10 offset:14592            // 000000008B90: DBC63900 C200000A
	ds_read_b64_tr_b16 a[196:197], v11 offset:14336            // 000000008B98: DBC63800 C400000B
	ds_read_b64_tr_b16 a[198:199], v11 offset:14592            // 000000008BA0: DBC63900 C600000B
	ds_read_b64_tr_b16 a[200:201], v10 offset:15360            // 000000008BA8: DBC63C00 C800000A
	ds_read_b64_tr_b16 a[202:203], v10 offset:15616            // 000000008BB0: DBC63D00 CA00000A
	ds_read_b64_tr_b16 a[204:205], v11 offset:15360            // 000000008BB8: DBC63C00 CC00000B
	ds_read_b64_tr_b16 a[206:207], v11 offset:15616            // 000000008BC0: DBC63D00 CE00000B
	s_waitcnt lgkmcnt(0)                                       // 000000008BC8: BF8CC07F
	v_mfma_f32_16x16x32_bf16 v[98:101], a[144:147], v[26:29], v[98:101]// 000000008BCC: D3B50062 0D8A3590
	v_mfma_f32_16x16x32_bf16 v[102:105], a[148:151], v[26:29], v[102:105]// 000000008BD4: D3B50066 0D9A3594
	v_mfma_f32_16x16x32_bf16 v[106:109], a[152:155], v[26:29], v[106:109]// 000000008BDC: D3B5006A 0DAA3598
	v_mfma_f32_16x16x32_bf16 v[110:113], a[156:159], v[26:29], v[110:113]// 000000008BE4: D3B5006E 0DBA359C
	v_mfma_f32_16x16x32_bf16 v[114:117], a[160:163], v[26:29], v[114:117]// 000000008BEC: D3B50072 0DCA35A0
	v_mfma_f32_16x16x32_bf16 v[118:121], a[164:167], v[26:29], v[118:121]// 000000008BF4: D3B50076 0DDA35A4
	v_mfma_f32_16x16x32_bf16 v[122:125], a[168:171], v[26:29], v[122:125]// 000000008BFC: D3B5007A 0DEA35A8
	v_mfma_f32_16x16x32_bf16 v[126:129], a[172:175], v[26:29], v[126:129]// 000000008C04: D3B5007E 0DFA35AC
	v_mfma_f32_16x16x32_bf16 v[130:133], a[176:179], v[26:29], v[130:133]// 000000008C0C: D3B50082 0E0A35B0
	v_mfma_f32_16x16x32_bf16 v[134:137], a[180:183], v[26:29], v[134:137]// 000000008C14: D3B50086 0E1A35B4
	v_mfma_f32_16x16x32_bf16 v[138:141], a[184:187], v[26:29], v[138:141]// 000000008C1C: D3B5008A 0E2A35B8
	v_mfma_f32_16x16x32_bf16 v[142:145], a[188:191], v[26:29], v[142:145]// 000000008C24: D3B5008E 0E3A35BC
	v_mfma_f32_16x16x32_bf16 v[146:149], a[192:195], v[26:29], v[146:149]// 000000008C2C: D3B50092 0E4A35C0
	v_mfma_f32_16x16x32_bf16 v[150:153], a[196:199], v[26:29], v[150:153]// 000000008C34: D3B50096 0E5A35C4
	v_mfma_f32_16x16x32_bf16 v[154:157], a[200:203], v[26:29], v[154:157]// 000000008C3C: D3B5009A 0E6A35C8
	v_mfma_f32_16x16x32_bf16 v[158:161], a[204:207], v[26:29], v[158:161]// 000000008C44: D3B5009E 0E7A35CC
	s_nop 8                                                    // 000000008C4C: BF800008
	s_branch label_6B5C                                        // 000000008C50: BF820000

0000000000008c54 <label_6B5C>:
	v_mov_b32_e32 v22, v4                                      // 000000008C54: 7E2C0304
	v_mov_b32_e32 v23, v4                                      // 000000008C58: 7E2E0304
	s_nop 1                                                    // 000000008C5C: BF800001
	v_permlane16_swap_b32_e32 v22, v23                         // 000000008C60: 7E2CB317
	v_mov_b32_e32 v25, v22                                     // 000000008C64: 7E320316
	v_mov_b32_e32 v24, v23                                     // 000000008C68: 7E300317
	s_nop 1                                                    // 000000008C6C: BF800001
	v_permlane32_swap_b32_e32 v22, v23                         // 000000008C70: 7E2CB517
	v_permlane32_swap_b32_e32 v24, v25                         // 000000008C74: 7E30B519
	v_mov_b32_e32 v4, 0                                        // 000000008C78: 7E080280
	v_add_f32_e32 v4, v22, v4                                  // 000000008C7C: 02080916
	v_add_f32_e32 v4, v23, v4                                  // 000000008C80: 02080917
	v_add_f32_e32 v4, v24, v4                                  // 000000008C84: 02080918
	v_add_f32_e32 v4, v25, v4                                  // 000000008C88: 02080919
	v_mov_b32_e32 v22, 0                                       // 000000008C8C: 7E2C0280
	v_cmp_eq_u32_e64 s[36:37], v22, v4                         // 000000008C90: D0CA0024 00020916
	v_mul_f32_e64 v22, v2, s64                                 // 000000008C98: D1050016 00008102
	v_log_f32_e32 v23, v4                                      // 000000008CA0: 7E2E4304
	s_nop 1                                                    // 000000008CA4: BF800001
	v_rcp_f32_e32 v4, v4                                       // 000000008CA8: 7E084504
	s_nop 1                                                    // 000000008CAC: BF800001
	v_fma_f32 v1, v23, s63, v22                                // 000000008CB0: D1CB0001 04587F17
	v_mul_f32_e32 v34, v4, v34                                 // 000000008CB8: 0A444504
	v_mul_f32_e32 v35, v4, v35                                 // 000000008CBC: 0A464704
	v_mul_f32_e32 v36, v4, v36                                 // 000000008CC0: 0A484904
	v_mul_f32_e32 v37, v4, v37                                 // 000000008CC4: 0A4A4B04
	v_mul_f32_e32 v38, v4, v38                                 // 000000008CC8: 0A4C4D04
	v_mul_f32_e32 v39, v4, v39                                 // 000000008CCC: 0A4E4F04
	v_mul_f32_e32 v40, v4, v40                                 // 000000008CD0: 0A505104
	v_mul_f32_e32 v41, v4, v41                                 // 000000008CD4: 0A525304
	v_mul_f32_e32 v42, v4, v42                                 // 000000008CD8: 0A545504
	v_mul_f32_e32 v43, v4, v43                                 // 000000008CDC: 0A565704
	v_mul_f32_e32 v44, v4, v44                                 // 000000008CE0: 0A585904
	v_mul_f32_e32 v45, v4, v45                                 // 000000008CE4: 0A5A5B04
	v_mul_f32_e32 v46, v4, v46                                 // 000000008CE8: 0A5C5D04
	v_mul_f32_e32 v47, v4, v47                                 // 000000008CEC: 0A5E5F04
	v_mul_f32_e32 v48, v4, v48                                 // 000000008CF0: 0A606104
	v_mul_f32_e32 v49, v4, v49                                 // 000000008CF4: 0A626304
	v_mul_f32_e32 v50, v4, v50                                 // 000000008CF8: 0A646504
	v_mul_f32_e32 v51, v4, v51                                 // 000000008CFC: 0A666704
	v_mul_f32_e32 v52, v4, v52                                 // 000000008D00: 0A686904
	v_mul_f32_e32 v53, v4, v53                                 // 000000008D04: 0A6A6B04
	v_mul_f32_e32 v54, v4, v54                                 // 000000008D08: 0A6C6D04
	v_mul_f32_e32 v55, v4, v55                                 // 000000008D0C: 0A6E6F04
	v_mul_f32_e32 v56, v4, v56                                 // 000000008D10: 0A707104
	v_mul_f32_e32 v57, v4, v57                                 // 000000008D14: 0A727304
	v_mul_f32_e32 v58, v4, v58                                 // 000000008D18: 0A747504
	v_mul_f32_e32 v59, v4, v59                                 // 000000008D1C: 0A767704
	v_mul_f32_e32 v60, v4, v60                                 // 000000008D20: 0A787904
	v_mul_f32_e32 v61, v4, v61                                 // 000000008D24: 0A7A7B04
	v_mul_f32_e32 v62, v4, v62                                 // 000000008D28: 0A7C7D04
	v_mul_f32_e32 v63, v4, v63                                 // 000000008D2C: 0A7E7F04
	v_mul_f32_e32 v64, v4, v64                                 // 000000008D30: 0A808104
	v_mul_f32_e32 v65, v4, v65                                 // 000000008D34: 0A828304
	v_mul_f32_e32 v66, v4, v66                                 // 000000008D38: 0A848504
	v_mul_f32_e32 v67, v4, v67                                 // 000000008D3C: 0A868704
	v_mul_f32_e32 v68, v4, v68                                 // 000000008D40: 0A888904
	v_mul_f32_e32 v69, v4, v69                                 // 000000008D44: 0A8A8B04
	v_mul_f32_e32 v70, v4, v70                                 // 000000008D48: 0A8C8D04
	v_mul_f32_e32 v71, v4, v71                                 // 000000008D4C: 0A8E8F04
	v_mul_f32_e32 v72, v4, v72                                 // 000000008D50: 0A909104
	v_mul_f32_e32 v73, v4, v73                                 // 000000008D54: 0A929304
	v_mul_f32_e32 v74, v4, v74                                 // 000000008D58: 0A949504
	v_mul_f32_e32 v75, v4, v75                                 // 000000008D5C: 0A969704
	v_mul_f32_e32 v76, v4, v76                                 // 000000008D60: 0A989904
	v_mul_f32_e32 v77, v4, v77                                 // 000000008D64: 0A9A9B04
	v_mul_f32_e32 v78, v4, v78                                 // 000000008D68: 0A9C9D04
	v_mul_f32_e32 v79, v4, v79                                 // 000000008D6C: 0A9E9F04
	v_mul_f32_e32 v80, v4, v80                                 // 000000008D70: 0AA0A104
	v_mul_f32_e32 v81, v4, v81                                 // 000000008D74: 0AA2A304
	v_mul_f32_e32 v82, v4, v82                                 // 000000008D78: 0AA4A504
	v_mul_f32_e32 v83, v4, v83                                 // 000000008D7C: 0AA6A704
	v_mul_f32_e32 v84, v4, v84                                 // 000000008D80: 0AA8A904
	v_mul_f32_e32 v85, v4, v85                                 // 000000008D84: 0AAAAB04
	v_mul_f32_e32 v86, v4, v86                                 // 000000008D88: 0AACAD04
	v_mul_f32_e32 v87, v4, v87                                 // 000000008D8C: 0AAEAF04
	v_mul_f32_e32 v88, v4, v88                                 // 000000008D90: 0AB0B104
	v_mul_f32_e32 v89, v4, v89                                 // 000000008D94: 0AB2B304
	v_mul_f32_e32 v90, v4, v90                                 // 000000008D98: 0AB4B504
	v_mul_f32_e32 v91, v4, v91                                 // 000000008D9C: 0AB6B704
	v_mul_f32_e32 v92, v4, v92                                 // 000000008DA0: 0AB8B904
	v_mul_f32_e32 v93, v4, v93                                 // 000000008DA4: 0ABABB04
	v_mul_f32_e32 v94, v4, v94                                 // 000000008DA8: 0ABCBD04
	v_mul_f32_e32 v95, v4, v95                                 // 000000008DAC: 0ABEBF04
	v_mul_f32_e32 v96, v4, v96                                 // 000000008DB0: 0AC0C104
	v_mul_f32_e32 v97, v4, v97                                 // 000000008DB4: 0AC2C304
	v_mul_f32_e32 v98, v4, v98                                 // 000000008DB8: 0AC4C504
	v_mul_f32_e32 v99, v4, v99                                 // 000000008DBC: 0AC6C704
	v_mul_f32_e32 v100, v4, v100                               // 000000008DC0: 0AC8C904
	v_mul_f32_e32 v101, v4, v101                               // 000000008DC4: 0ACACB04
	v_mul_f32_e32 v102, v4, v102                               // 000000008DC8: 0ACCCD04
	v_mul_f32_e32 v103, v4, v103                               // 000000008DCC: 0ACECF04
	v_mul_f32_e32 v104, v4, v104                               // 000000008DD0: 0AD0D104
	v_mul_f32_e32 v105, v4, v105                               // 000000008DD4: 0AD2D304
	v_mul_f32_e32 v106, v4, v106                               // 000000008DD8: 0AD4D504
	v_mul_f32_e32 v107, v4, v107                               // 000000008DDC: 0AD6D704
	v_mul_f32_e32 v108, v4, v108                               // 000000008DE0: 0AD8D904
	v_mul_f32_e32 v109, v4, v109                               // 000000008DE4: 0ADADB04
	v_mul_f32_e32 v110, v4, v110                               // 000000008DE8: 0ADCDD04
	v_mul_f32_e32 v111, v4, v111                               // 000000008DEC: 0ADEDF04
	v_mul_f32_e32 v112, v4, v112                               // 000000008DF0: 0AE0E104
	v_mul_f32_e32 v113, v4, v113                               // 000000008DF4: 0AE2E304
	v_mul_f32_e32 v114, v4, v114                               // 000000008DF8: 0AE4E504
	v_mul_f32_e32 v115, v4, v115                               // 000000008DFC: 0AE6E704
	v_mul_f32_e32 v116, v4, v116                               // 000000008E00: 0AE8E904
	v_mul_f32_e32 v117, v4, v117                               // 000000008E04: 0AEAEB04
	v_mul_f32_e32 v118, v4, v118                               // 000000008E08: 0AECED04
	v_mul_f32_e32 v119, v4, v119                               // 000000008E0C: 0AEEEF04
	v_mul_f32_e32 v120, v4, v120                               // 000000008E10: 0AF0F104
	v_mul_f32_e32 v121, v4, v121                               // 000000008E14: 0AF2F304
	v_mul_f32_e32 v122, v4, v122                               // 000000008E18: 0AF4F504
	v_mul_f32_e32 v123, v4, v123                               // 000000008E1C: 0AF6F704
	v_mul_f32_e32 v124, v4, v124                               // 000000008E20: 0AF8F904
	v_mul_f32_e32 v125, v4, v125                               // 000000008E24: 0AFAFB04
	v_mul_f32_e32 v126, v4, v126                               // 000000008E28: 0AFCFD04
	v_mul_f32_e32 v127, v4, v127                               // 000000008E2C: 0AFEFF04
	v_mul_f32_e32 v128, v4, v128                               // 000000008E30: 0B010104
	v_mul_f32_e32 v129, v4, v129                               // 000000008E34: 0B030304
	v_mul_f32_e32 v130, v4, v130                               // 000000008E38: 0B050504
	v_mul_f32_e32 v131, v4, v131                               // 000000008E3C: 0B070704
	v_mul_f32_e32 v132, v4, v132                               // 000000008E40: 0B090904
	v_mul_f32_e32 v133, v4, v133                               // 000000008E44: 0B0B0B04
	v_mul_f32_e32 v134, v4, v134                               // 000000008E48: 0B0D0D04
	v_mul_f32_e32 v135, v4, v135                               // 000000008E4C: 0B0F0F04
	v_mul_f32_e32 v136, v4, v136                               // 000000008E50: 0B111104
	v_mul_f32_e32 v137, v4, v137                               // 000000008E54: 0B131304
	v_mul_f32_e32 v138, v4, v138                               // 000000008E58: 0B151504
	v_mul_f32_e32 v139, v4, v139                               // 000000008E5C: 0B171704
	v_mul_f32_e32 v140, v4, v140                               // 000000008E60: 0B191904
	v_mul_f32_e32 v141, v4, v141                               // 000000008E64: 0B1B1B04
	v_mul_f32_e32 v142, v4, v142                               // 000000008E68: 0B1D1D04
	v_mul_f32_e32 v143, v4, v143                               // 000000008E6C: 0B1F1F04
	v_mul_f32_e32 v144, v4, v144                               // 000000008E70: 0B212104
	v_mul_f32_e32 v145, v4, v145                               // 000000008E74: 0B232304
	v_mul_f32_e32 v146, v4, v146                               // 000000008E78: 0B252504
	v_mul_f32_e32 v147, v4, v147                               // 000000008E7C: 0B272704
	v_mul_f32_e32 v148, v4, v148                               // 000000008E80: 0B292904
	v_mul_f32_e32 v149, v4, v149                               // 000000008E84: 0B2B2B04
	v_mul_f32_e32 v150, v4, v150                               // 000000008E88: 0B2D2D04
	v_mul_f32_e32 v151, v4, v151                               // 000000008E8C: 0B2F2F04
	v_mul_f32_e32 v152, v4, v152                               // 000000008E90: 0B313104
	v_mul_f32_e32 v153, v4, v153                               // 000000008E94: 0B333304
	v_mul_f32_e32 v154, v4, v154                               // 000000008E98: 0B353504
	v_mul_f32_e32 v155, v4, v155                               // 000000008E9C: 0B373704
	v_mul_f32_e32 v156, v4, v156                               // 000000008EA0: 0B393904
	v_mul_f32_e32 v157, v4, v157                               // 000000008EA4: 0B3B3B04
	v_mul_f32_e32 v158, v4, v158                               // 000000008EA8: 0B3D3D04
	v_mul_f32_e32 v159, v4, v159                               // 000000008EAC: 0B3F3F04
	v_mul_f32_e32 v160, v4, v160                               // 000000008EB0: 0B414104
	v_mul_f32_e32 v161, v4, v161                               // 000000008EB4: 0B434304
	s_cmp_lt_i32 s87, 0                                        // 000000008EB8: BF048057
	s_cbranch_scc1 label_74D0                                  // 000000008EBC: BF8501C2
	s_mul_i32 s75, 0x800, 16                                   // 000000008EC0: 924B90FF 00000800
	s_add_u32 s57, s87, s7                                     // 000000008EC8: 80390757
	s_mul_i32 s56, s57, s75                                    // 000000008ECC: 92384B39
	s_add_u32 s8, s56, s8                                      // 000000008ED0: 80080838
	s_addc_u32 s9, 0, s9                                       // 000000008ED4: 82090980
	s_mul_i32 s56, s75, s81                                    // 000000008ED8: 9238514B
	s_mov_b32 s10, s56                                         // 000000008EDC: BE8A0038
	v_lshrrev_b32_e32 v22, 5, v0                               // 000000008EE0: 202C0085
	s_mov_b32 s57, 0x800                                       // 000000008EE4: BEB900FF 00000800
	v_mul_i32_i24_e32 v22, s57, v22                            // 000000008EEC: 0C2C2C39
	v_and_b32_e32 v5, 31, v0                                   // 000000008EF0: 260A009F
	v_lshlrev_b32_e32 v5, 4, v5                                // 000000008EF4: 240A0A84
	v_add_u32_e32 v5, v5, v22                                  // 000000008EF8: 680A2D05
	s_mul_i32 s57, 4, 16                                       // 000000008EFC: 92399084
	s_add_u32 s56, s87, s7                                     // 000000008F00: 80380757
	s_mul_i32 s56, s56, s57                                    // 000000008F04: 92383938
	s_add_u32 s12, s56, s12                                    // 000000008F08: 800C0C38
	s_addc_u32 s13, 0, s13                                     // 000000008F0C: 820D0D80
	s_mul_i32 s58, s57, s81                                    // 000000008F10: 923A5139
	s_mov_b32 s14, s58                                         // 000000008F14: BE8E003A
	v_and_b32_e32 v4, 15, v0                                   // 000000008F18: 2608008F
	v_lshlrev_b32_e32 v4, 2, v4                                // 000000008F1C: 24080882
	v_mov_b32_e32 v2, v5                                       // 000000008F20: 7E040305
	s_waitcnt vmcnt(0) lgkmcnt(0)                              // 000000008F24: BF8C0070
	v_lshlrev_b32_e32 v12, 2, v0                               // 000000008F28: 24180082
	s_mul_i32 s56, s7, 0x840                                   // 000000008F2C: 9238FF07 00000840
	v_add_u32_e32 v12, s56, v12                                // 000000008F34: 68181838
	v_lshlrev_b32_e32 v12, 2, v12                              // 000000008F38: 24181882
	v_lshrrev_b32_e32 v22, 5, v0                               // 000000008F3C: 202C0085
	v_mul_i32_i24_e32 v3, 4, v22                               // 000000008F40: 0C062C84
	v_and_b32_e32 v22, 31, v0                                  // 000000008F44: 262C009F
	v_lshrrev_b32_e32 v22, 2, v22                              // 000000008F48: 202C2C82
	v_mul_i32_i24_e32 v22, 8, v22                              // 000000008F4C: 0C2C2C88
	v_add_u32_e32 v3, v22, v3                                  // 000000008F50: 68060716
	v_and_b32_e32 v22, 31, v0                                  // 000000008F54: 262C009F
	v_mul_i32_i24_e32 v22, 64, v22                             // 000000008F58: 0C2C2CC0
	v_add_u32_e32 v3, v22, v3                                  // 000000008F5C: 68060716
	s_mul_i32 s56, s7, 0x840                                   // 000000008F60: 9238FF07 00000840
	v_add_u32_e32 v3, s56, v3                                  // 000000008F68: 68060638
	v_lshlrev_b32_e32 v3, 2, v3                                // 000000008F6C: 24060682
	s_mul_i32 s56, 0, s75                                      // 000000008F70: 92384B80
	v_add_u32_e64 v2, v2, s56                                  // 000000008F74: D1340002 00007102
	v_mov_b32_e32 v22, v34                                     // 000000008F7C: 7E2C0322
	v_mov_b32_e32 v23, v35                                     // 000000008F80: 7E2E0323
	v_mov_b32_e32 v24, v36                                     // 000000008F84: 7E300324
	v_mov_b32_e32 v25, v37                                     // 000000008F88: 7E320325
	ds_write_b128 v12, v[22:25]                                // 000000008F8C: D9BE0000 0000160C
	v_mov_b32_e32 v22, v38                                     // 000000008F94: 7E2C0326
	v_mov_b32_e32 v23, v39                                     // 000000008F98: 7E2E0327
	v_mov_b32_e32 v24, v40                                     // 000000008F9C: 7E300328
	v_mov_b32_e32 v25, v41                                     // 000000008FA0: 7E320329
	ds_write_b128 v12, v[22:25] offset:1056                    // 000000008FA4: D9BE0420 0000160C
	v_mov_b32_e32 v22, v42                                     // 000000008FAC: 7E2C032A
	v_mov_b32_e32 v23, v43                                     // 000000008FB0: 7E2E032B
	v_mov_b32_e32 v24, v44                                     // 000000008FB4: 7E30032C
	v_mov_b32_e32 v25, v45                                     // 000000008FB8: 7E32032D
	ds_write_b128 v12, v[22:25] offset:2112                    // 000000008FBC: D9BE0840 0000160C
	v_mov_b32_e32 v22, v46                                     // 000000008FC4: 7E2C032E
	v_mov_b32_e32 v23, v47                                     // 000000008FC8: 7E2E032F
	v_mov_b32_e32 v24, v48                                     // 000000008FCC: 7E300330
	v_mov_b32_e32 v25, v49                                     // 000000008FD0: 7E320331
	ds_write_b128 v12, v[22:25] offset:3168                    // 000000008FD4: D9BE0C60 0000160C
	v_mov_b32_e32 v22, v50                                     // 000000008FDC: 7E2C0332
	v_mov_b32_e32 v23, v51                                     // 000000008FE0: 7E2E0333
	v_mov_b32_e32 v24, v52                                     // 000000008FE4: 7E300334
	v_mov_b32_e32 v25, v53                                     // 000000008FE8: 7E320335
	ds_write_b128 v12, v[22:25] offset:4224                    // 000000008FEC: D9BE1080 0000160C
	v_mov_b32_e32 v22, v54                                     // 000000008FF4: 7E2C0336
	v_mov_b32_e32 v23, v55                                     // 000000008FF8: 7E2E0337
	v_mov_b32_e32 v24, v56                                     // 000000008FFC: 7E300338
	v_mov_b32_e32 v25, v57                                     // 000000009000: 7E320339
	ds_write_b128 v12, v[22:25] offset:5280                    // 000000009004: D9BE14A0 0000160C
	v_mov_b32_e32 v22, v58                                     // 00000000900C: 7E2C033A
	v_mov_b32_e32 v23, v59                                     // 000000009010: 7E2E033B
	v_mov_b32_e32 v24, v60                                     // 000000009014: 7E30033C
	v_mov_b32_e32 v25, v61                                     // 000000009018: 7E32033D
	ds_write_b128 v12, v[22:25] offset:6336                    // 00000000901C: D9BE18C0 0000160C
	v_mov_b32_e32 v22, v62                                     // 000000009024: 7E2C033E
	v_mov_b32_e32 v23, v63                                     // 000000009028: 7E2E033F
	v_mov_b32_e32 v24, v64                                     // 00000000902C: 7E300340
	v_mov_b32_e32 v25, v65                                     // 000000009030: 7E320341
	ds_write_b128 v12, v[22:25] offset:7392                    // 000000009034: D9BE1CE0 0000160C
	s_waitcnt lgkmcnt(4)                                       // 00000000903C: BF8CC47F
	ds_read_b128 v[34:37], v3                                  // 000000009040: D9FE0000 22000003
	ds_read_b128 v[38:41], v3 offset:32                        // 000000009048: D9FE0020 26000003
	ds_read_b128 v[42:45], v3 offset:64                        // 000000009050: D9FE0040 2A000003
	ds_read_b128 v[46:49], v3 offset:96                        // 000000009058: D9FE0060 2E000003
	s_waitcnt lgkmcnt(4)                                       // 000000009060: BF8CC47F
	ds_read_b128 v[50:53], v3 offset:128                       // 000000009064: D9FE0080 32000003
	ds_read_b128 v[54:57], v3 offset:160                       // 00000000906C: D9FE00A0 36000003
	ds_read_b128 v[58:61], v3 offset:192                       // 000000009074: D9FE00C0 3A000003
	ds_read_b128 v[62:65], v3 offset:224                       // 00000000907C: D9FE00E0 3E000003
	s_waitcnt lgkmcnt(0)                                       // 000000009084: BF8CC07F
	v_mov_b32_e32 v5, v2                                       // 000000009088: 7E0A0302
	buffer_store_dwordx4 v[34:37], v5, s[8:11], 0 offen        // 00000000908C: E07C1000 80022205
	v_add_u32_e32 v5, 0x1000, v5                               // 000000009094: 680A0AFF 00001000
	buffer_store_dwordx4 v[38:41], v5, s[8:11], 0 offen        // 00000000909C: E07C1000 80022605
	v_add_u32_e32 v5, 0x1000, v5                               // 0000000090A4: 680A0AFF 00001000
	buffer_store_dwordx4 v[42:45], v5, s[8:11], 0 offen        // 0000000090AC: E07C1000 80022A05
	v_add_u32_e32 v5, 0x1000, v5                               // 0000000090B4: 680A0AFF 00001000
	buffer_store_dwordx4 v[46:49], v5, s[8:11], 0 offen        // 0000000090BC: E07C1000 80022E05
	v_add_u32_e32 v5, 0x1000, v5                               // 0000000090C4: 680A0AFF 00001000
	buffer_store_dwordx4 v[50:53], v5, s[8:11], 0 offen        // 0000000090CC: E07C1000 80023205
	v_add_u32_e32 v5, 0x1000, v5                               // 0000000090D4: 680A0AFF 00001000
	buffer_store_dwordx4 v[54:57], v5, s[8:11], 0 offen        // 0000000090DC: E07C1000 80023605
	v_add_u32_e32 v5, 0x1000, v5                               // 0000000090E4: 680A0AFF 00001000
	buffer_store_dwordx4 v[58:61], v5, s[8:11], 0 offen        // 0000000090EC: E07C1000 80023A05
	v_add_u32_e32 v5, 0x1000, v5                               // 0000000090F4: 680A0AFF 00001000
	buffer_store_dwordx4 v[62:65], v5, s[8:11], 0 offen        // 0000000090FC: E07C1000 80023E05
	v_add_u32_e32 v5, 0x1000, v5                               // 000000009104: 680A0AFF 00001000
	v_mov_b32_e32 v22, v66                                     // 00000000910C: 7E2C0342
	v_mov_b32_e32 v23, v67                                     // 000000009110: 7E2E0343
	v_mov_b32_e32 v24, v68                                     // 000000009114: 7E300344
	v_mov_b32_e32 v25, v69                                     // 000000009118: 7E320345
	ds_write_b128 v12, v[22:25]                                // 00000000911C: D9BE0000 0000160C
	v_mov_b32_e32 v22, v70                                     // 000000009124: 7E2C0346
	v_mov_b32_e32 v23, v71                                     // 000000009128: 7E2E0347
	v_mov_b32_e32 v24, v72                                     // 00000000912C: 7E300348
	v_mov_b32_e32 v25, v73                                     // 000000009130: 7E320349
	ds_write_b128 v12, v[22:25] offset:1056                    // 000000009134: D9BE0420 0000160C
	v_mov_b32_e32 v22, v74                                     // 00000000913C: 7E2C034A
	v_mov_b32_e32 v23, v75                                     // 000000009140: 7E2E034B
	v_mov_b32_e32 v24, v76                                     // 000000009144: 7E30034C
	v_mov_b32_e32 v25, v77                                     // 000000009148: 7E32034D
	ds_write_b128 v12, v[22:25] offset:2112                    // 00000000914C: D9BE0840 0000160C
	v_mov_b32_e32 v22, v78                                     // 000000009154: 7E2C034E
	v_mov_b32_e32 v23, v79                                     // 000000009158: 7E2E034F
	v_mov_b32_e32 v24, v80                                     // 00000000915C: 7E300350
	v_mov_b32_e32 v25, v81                                     // 000000009160: 7E320351
	ds_write_b128 v12, v[22:25] offset:3168                    // 000000009164: D9BE0C60 0000160C
	v_mov_b32_e32 v22, v82                                     // 00000000916C: 7E2C0352
	v_mov_b32_e32 v23, v83                                     // 000000009170: 7E2E0353
	v_mov_b32_e32 v24, v84                                     // 000000009174: 7E300354
	v_mov_b32_e32 v25, v85                                     // 000000009178: 7E320355
	ds_write_b128 v12, v[22:25] offset:4224                    // 00000000917C: D9BE1080 0000160C
	v_mov_b32_e32 v22, v86                                     // 000000009184: 7E2C0356
	v_mov_b32_e32 v23, v87                                     // 000000009188: 7E2E0357
	v_mov_b32_e32 v24, v88                                     // 00000000918C: 7E300358
	v_mov_b32_e32 v25, v89                                     // 000000009190: 7E320359
	ds_write_b128 v12, v[22:25] offset:5280                    // 000000009194: D9BE14A0 0000160C
	v_mov_b32_e32 v22, v90                                     // 00000000919C: 7E2C035A
	v_mov_b32_e32 v23, v91                                     // 0000000091A0: 7E2E035B
	v_mov_b32_e32 v24, v92                                     // 0000000091A4: 7E30035C
	v_mov_b32_e32 v25, v93                                     // 0000000091A8: 7E32035D
	ds_write_b128 v12, v[22:25] offset:6336                    // 0000000091AC: D9BE18C0 0000160C
	v_mov_b32_e32 v22, v94                                     // 0000000091B4: 7E2C035E
	v_mov_b32_e32 v23, v95                                     // 0000000091B8: 7E2E035F
	v_mov_b32_e32 v24, v96                                     // 0000000091BC: 7E300360
	v_mov_b32_e32 v25, v97                                     // 0000000091C0: 7E320361
	ds_write_b128 v12, v[22:25] offset:7392                    // 0000000091C4: D9BE1CE0 0000160C
	s_waitcnt lgkmcnt(4)                                       // 0000000091CC: BF8CC47F
	ds_read_b128 v[34:37], v3                                  // 0000000091D0: D9FE0000 22000003
	ds_read_b128 v[38:41], v3 offset:32                        // 0000000091D8: D9FE0020 26000003
	ds_read_b128 v[42:45], v3 offset:64                        // 0000000091E0: D9FE0040 2A000003
	ds_read_b128 v[46:49], v3 offset:96                        // 0000000091E8: D9FE0060 2E000003
	s_waitcnt lgkmcnt(4)                                       // 0000000091F0: BF8CC47F
	ds_read_b128 v[50:53], v3 offset:128                       // 0000000091F4: D9FE0080 32000003
	ds_read_b128 v[54:57], v3 offset:160                       // 0000000091FC: D9FE00A0 36000003
	ds_read_b128 v[58:61], v3 offset:192                       // 000000009204: D9FE00C0 3A000003
	ds_read_b128 v[62:65], v3 offset:224                       // 00000000920C: D9FE00E0 3E000003
	s_waitcnt lgkmcnt(0)                                       // 000000009214: BF8CC07F
	v_mov_b32_e32 v5, v2                                       // 000000009218: 7E0A0302
	buffer_store_dwordx4 v[34:37], v5, s[8:11], 0 offen offset:512// 00000000921C: E07C1200 80022205
	v_add_u32_e32 v5, 0x1000, v5                               // 000000009224: 680A0AFF 00001000
	buffer_store_dwordx4 v[38:41], v5, s[8:11], 0 offen offset:512// 00000000922C: E07C1200 80022605
	v_add_u32_e32 v5, 0x1000, v5                               // 000000009234: 680A0AFF 00001000
	buffer_store_dwordx4 v[42:45], v5, s[8:11], 0 offen offset:512// 00000000923C: E07C1200 80022A05
	v_add_u32_e32 v5, 0x1000, v5                               // 000000009244: 680A0AFF 00001000
	buffer_store_dwordx4 v[46:49], v5, s[8:11], 0 offen offset:512// 00000000924C: E07C1200 80022E05
	v_add_u32_e32 v5, 0x1000, v5                               // 000000009254: 680A0AFF 00001000
	buffer_store_dwordx4 v[50:53], v5, s[8:11], 0 offen offset:512// 00000000925C: E07C1200 80023205
	v_add_u32_e32 v5, 0x1000, v5                               // 000000009264: 680A0AFF 00001000
	buffer_store_dwordx4 v[54:57], v5, s[8:11], 0 offen offset:512// 00000000926C: E07C1200 80023605
	v_add_u32_e32 v5, 0x1000, v5                               // 000000009274: 680A0AFF 00001000
	buffer_store_dwordx4 v[58:61], v5, s[8:11], 0 offen offset:512// 00000000927C: E07C1200 80023A05
	v_add_u32_e32 v5, 0x1000, v5                               // 000000009284: 680A0AFF 00001000
	buffer_store_dwordx4 v[62:65], v5, s[8:11], 0 offen offset:512// 00000000928C: E07C1200 80023E05
	v_add_u32_e32 v5, 0x1000, v5                               // 000000009294: 680A0AFF 00001000
	v_mov_b32_e32 v22, v98                                     // 00000000929C: 7E2C0362
	v_mov_b32_e32 v23, v99                                     // 0000000092A0: 7E2E0363
	v_mov_b32_e32 v24, v100                                    // 0000000092A4: 7E300364
	v_mov_b32_e32 v25, v101                                    // 0000000092A8: 7E320365
	ds_write_b128 v12, v[22:25]                                // 0000000092AC: D9BE0000 0000160C
	v_mov_b32_e32 v22, v102                                    // 0000000092B4: 7E2C0366
	v_mov_b32_e32 v23, v103                                    // 0000000092B8: 7E2E0367
	v_mov_b32_e32 v24, v104                                    // 0000000092BC: 7E300368
	v_mov_b32_e32 v25, v105                                    // 0000000092C0: 7E320369
	ds_write_b128 v12, v[22:25] offset:1056                    // 0000000092C4: D9BE0420 0000160C
	v_mov_b32_e32 v22, v106                                    // 0000000092CC: 7E2C036A
	v_mov_b32_e32 v23, v107                                    // 0000000092D0: 7E2E036B
	v_mov_b32_e32 v24, v108                                    // 0000000092D4: 7E30036C
	v_mov_b32_e32 v25, v109                                    // 0000000092D8: 7E32036D
	ds_write_b128 v12, v[22:25] offset:2112                    // 0000000092DC: D9BE0840 0000160C
	v_mov_b32_e32 v22, v110                                    // 0000000092E4: 7E2C036E
	v_mov_b32_e32 v23, v111                                    // 0000000092E8: 7E2E036F
	v_mov_b32_e32 v24, v112                                    // 0000000092EC: 7E300370
	v_mov_b32_e32 v25, v113                                    // 0000000092F0: 7E320371
	ds_write_b128 v12, v[22:25] offset:3168                    // 0000000092F4: D9BE0C60 0000160C
	v_mov_b32_e32 v22, v114                                    // 0000000092FC: 7E2C0372
	v_mov_b32_e32 v23, v115                                    // 000000009300: 7E2E0373
	v_mov_b32_e32 v24, v116                                    // 000000009304: 7E300374
	v_mov_b32_e32 v25, v117                                    // 000000009308: 7E320375
	ds_write_b128 v12, v[22:25] offset:4224                    // 00000000930C: D9BE1080 0000160C
	v_mov_b32_e32 v22, v118                                    // 000000009314: 7E2C0376
	v_mov_b32_e32 v23, v119                                    // 000000009318: 7E2E0377
	v_mov_b32_e32 v24, v120                                    // 00000000931C: 7E300378
	v_mov_b32_e32 v25, v121                                    // 000000009320: 7E320379
	ds_write_b128 v12, v[22:25] offset:5280                    // 000000009324: D9BE14A0 0000160C
	v_mov_b32_e32 v22, v122                                    // 00000000932C: 7E2C037A
	v_mov_b32_e32 v23, v123                                    // 000000009330: 7E2E037B
	v_mov_b32_e32 v24, v124                                    // 000000009334: 7E30037C
	v_mov_b32_e32 v25, v125                                    // 000000009338: 7E32037D
	ds_write_b128 v12, v[22:25] offset:6336                    // 00000000933C: D9BE18C0 0000160C
	v_mov_b32_e32 v22, v126                                    // 000000009344: 7E2C037E
	v_mov_b32_e32 v23, v127                                    // 000000009348: 7E2E037F
	v_mov_b32_e32 v24, v128                                    // 00000000934C: 7E300380
	v_mov_b32_e32 v25, v129                                    // 000000009350: 7E320381
	ds_write_b128 v12, v[22:25] offset:7392                    // 000000009354: D9BE1CE0 0000160C
	s_waitcnt lgkmcnt(4)                                       // 00000000935C: BF8CC47F
	ds_read_b128 v[34:37], v3                                  // 000000009360: D9FE0000 22000003
	ds_read_b128 v[38:41], v3 offset:32                        // 000000009368: D9FE0020 26000003
	ds_read_b128 v[42:45], v3 offset:64                        // 000000009370: D9FE0040 2A000003
	ds_read_b128 v[46:49], v3 offset:96                        // 000000009378: D9FE0060 2E000003
	s_waitcnt lgkmcnt(4)                                       // 000000009380: BF8CC47F
	ds_read_b128 v[50:53], v3 offset:128                       // 000000009384: D9FE0080 32000003
	ds_read_b128 v[54:57], v3 offset:160                       // 00000000938C: D9FE00A0 36000003
	ds_read_b128 v[58:61], v3 offset:192                       // 000000009394: D9FE00C0 3A000003
	ds_read_b128 v[62:65], v3 offset:224                       // 00000000939C: D9FE00E0 3E000003
	s_waitcnt lgkmcnt(0)                                       // 0000000093A4: BF8CC07F
	v_mov_b32_e32 v5, v2                                       // 0000000093A8: 7E0A0302
	buffer_store_dwordx4 v[34:37], v5, s[8:11], 0 offen offset:1024// 0000000093AC: E07C1400 80022205
	v_add_u32_e32 v5, 0x1000, v5                               // 0000000093B4: 680A0AFF 00001000
	buffer_store_dwordx4 v[38:41], v5, s[8:11], 0 offen offset:1024// 0000000093BC: E07C1400 80022605
	v_add_u32_e32 v5, 0x1000, v5                               // 0000000093C4: 680A0AFF 00001000
	buffer_store_dwordx4 v[42:45], v5, s[8:11], 0 offen offset:1024// 0000000093CC: E07C1400 80022A05
	v_add_u32_e32 v5, 0x1000, v5                               // 0000000093D4: 680A0AFF 00001000
	buffer_store_dwordx4 v[46:49], v5, s[8:11], 0 offen offset:1024// 0000000093DC: E07C1400 80022E05
	v_add_u32_e32 v5, 0x1000, v5                               // 0000000093E4: 680A0AFF 00001000
	buffer_store_dwordx4 v[50:53], v5, s[8:11], 0 offen offset:1024// 0000000093EC: E07C1400 80023205
	v_add_u32_e32 v5, 0x1000, v5                               // 0000000093F4: 680A0AFF 00001000
	buffer_store_dwordx4 v[54:57], v5, s[8:11], 0 offen offset:1024// 0000000093FC: E07C1400 80023605
	v_add_u32_e32 v5, 0x1000, v5                               // 000000009404: 680A0AFF 00001000
	buffer_store_dwordx4 v[58:61], v5, s[8:11], 0 offen offset:1024// 00000000940C: E07C1400 80023A05
	v_add_u32_e32 v5, 0x1000, v5                               // 000000009414: 680A0AFF 00001000
	buffer_store_dwordx4 v[62:65], v5, s[8:11], 0 offen offset:1024// 00000000941C: E07C1400 80023E05
	v_add_u32_e32 v5, 0x1000, v5                               // 000000009424: 680A0AFF 00001000
	v_mov_b32_e32 v22, v130                                    // 00000000942C: 7E2C0382
	v_mov_b32_e32 v23, v131                                    // 000000009430: 7E2E0383
	v_mov_b32_e32 v24, v132                                    // 000000009434: 7E300384
	v_mov_b32_e32 v25, v133                                    // 000000009438: 7E320385
	ds_write_b128 v12, v[22:25]                                // 00000000943C: D9BE0000 0000160C
	v_mov_b32_e32 v22, v134                                    // 000000009444: 7E2C0386
	v_mov_b32_e32 v23, v135                                    // 000000009448: 7E2E0387
	v_mov_b32_e32 v24, v136                                    // 00000000944C: 7E300388
	v_mov_b32_e32 v25, v137                                    // 000000009450: 7E320389
	ds_write_b128 v12, v[22:25] offset:1056                    // 000000009454: D9BE0420 0000160C
	v_mov_b32_e32 v22, v138                                    // 00000000945C: 7E2C038A
	v_mov_b32_e32 v23, v139                                    // 000000009460: 7E2E038B
	v_mov_b32_e32 v24, v140                                    // 000000009464: 7E30038C
	v_mov_b32_e32 v25, v141                                    // 000000009468: 7E32038D
	ds_write_b128 v12, v[22:25] offset:2112                    // 00000000946C: D9BE0840 0000160C
	v_mov_b32_e32 v22, v142                                    // 000000009474: 7E2C038E
	v_mov_b32_e32 v23, v143                                    // 000000009478: 7E2E038F
	v_mov_b32_e32 v24, v144                                    // 00000000947C: 7E300390
	v_mov_b32_e32 v25, v145                                    // 000000009480: 7E320391
	ds_write_b128 v12, v[22:25] offset:3168                    // 000000009484: D9BE0C60 0000160C
	v_mov_b32_e32 v22, v146                                    // 00000000948C: 7E2C0392
	v_mov_b32_e32 v23, v147                                    // 000000009490: 7E2E0393
	v_mov_b32_e32 v24, v148                                    // 000000009494: 7E300394
	v_mov_b32_e32 v25, v149                                    // 000000009498: 7E320395
	ds_write_b128 v12, v[22:25] offset:4224                    // 00000000949C: D9BE1080 0000160C
	v_mov_b32_e32 v22, v150                                    // 0000000094A4: 7E2C0396
	v_mov_b32_e32 v23, v151                                    // 0000000094A8: 7E2E0397
	v_mov_b32_e32 v24, v152                                    // 0000000094AC: 7E300398
	v_mov_b32_e32 v25, v153                                    // 0000000094B0: 7E320399
	ds_write_b128 v12, v[22:25] offset:5280                    // 0000000094B4: D9BE14A0 0000160C
	v_mov_b32_e32 v22, v154                                    // 0000000094BC: 7E2C039A
	v_mov_b32_e32 v23, v155                                    // 0000000094C0: 7E2E039B
	v_mov_b32_e32 v24, v156                                    // 0000000094C4: 7E30039C
	v_mov_b32_e32 v25, v157                                    // 0000000094C8: 7E32039D
	ds_write_b128 v12, v[22:25] offset:6336                    // 0000000094CC: D9BE18C0 0000160C
	v_mov_b32_e32 v22, v158                                    // 0000000094D4: 7E2C039E
	v_mov_b32_e32 v23, v159                                    // 0000000094D8: 7E2E039F
	v_mov_b32_e32 v24, v160                                    // 0000000094DC: 7E3003A0
	v_mov_b32_e32 v25, v161                                    // 0000000094E0: 7E3203A1
	ds_write_b128 v12, v[22:25] offset:7392                    // 0000000094E4: D9BE1CE0 0000160C
	s_waitcnt lgkmcnt(4)                                       // 0000000094EC: BF8CC47F
	ds_read_b128 v[34:37], v3                                  // 0000000094F0: D9FE0000 22000003
	ds_read_b128 v[38:41], v3 offset:32                        // 0000000094F8: D9FE0020 26000003
	ds_read_b128 v[42:45], v3 offset:64                        // 000000009500: D9FE0040 2A000003
	ds_read_b128 v[46:49], v3 offset:96                        // 000000009508: D9FE0060 2E000003
	s_waitcnt lgkmcnt(4)                                       // 000000009510: BF8CC47F
	ds_read_b128 v[50:53], v3 offset:128                       // 000000009514: D9FE0080 32000003
	ds_read_b128 v[54:57], v3 offset:160                       // 00000000951C: D9FE00A0 36000003
	ds_read_b128 v[58:61], v3 offset:192                       // 000000009524: D9FE00C0 3A000003
	ds_read_b128 v[62:65], v3 offset:224                       // 00000000952C: D9FE00E0 3E000003
	s_waitcnt lgkmcnt(0)                                       // 000000009534: BF8CC07F
	v_mov_b32_e32 v5, v2                                       // 000000009538: 7E0A0302
	buffer_store_dwordx4 v[34:37], v5, s[8:11], 0 offen offset:1536// 00000000953C: E07C1600 80022205
	v_add_u32_e32 v5, 0x1000, v5                               // 000000009544: 680A0AFF 00001000
	buffer_store_dwordx4 v[38:41], v5, s[8:11], 0 offen offset:1536// 00000000954C: E07C1600 80022605
	v_add_u32_e32 v5, 0x1000, v5                               // 000000009554: 680A0AFF 00001000
	buffer_store_dwordx4 v[42:45], v5, s[8:11], 0 offen offset:1536// 00000000955C: E07C1600 80022A05
	v_add_u32_e32 v5, 0x1000, v5                               // 000000009564: 680A0AFF 00001000
	buffer_store_dwordx4 v[46:49], v5, s[8:11], 0 offen offset:1536// 00000000956C: E07C1600 80022E05
	v_add_u32_e32 v5, 0x1000, v5                               // 000000009574: 680A0AFF 00001000
	buffer_store_dwordx4 v[50:53], v5, s[8:11], 0 offen offset:1536// 00000000957C: E07C1600 80023205
	v_add_u32_e32 v5, 0x1000, v5                               // 000000009584: 680A0AFF 00001000
	buffer_store_dwordx4 v[54:57], v5, s[8:11], 0 offen offset:1536// 00000000958C: E07C1600 80023605
	v_add_u32_e32 v5, 0x1000, v5                               // 000000009594: 680A0AFF 00001000
	buffer_store_dwordx4 v[58:61], v5, s[8:11], 0 offen offset:1536// 00000000959C: E07C1600 80023A05
	v_add_u32_e32 v5, 0x1000, v5                               // 0000000095A4: 680A0AFF 00001000
	buffer_store_dwordx4 v[62:65], v5, s[8:11], 0 offen offset:1536// 0000000095AC: E07C1600 80023E05
	v_add_u32_e32 v5, 0x1000, v5                               // 0000000095B4: 680A0AFF 00001000
	buffer_store_dword v1, v4, s[12:15], 0 offen               // 0000000095BC: E0701000 80030104
	s_branch label_7C34                                        // 0000000095C4: BF8201D9

00000000000095c8 <label_74D0>:
	s_mov_b32 s75, 0x4000                                      // 0000000095C8: BECB00FF 00004000
	s_mul_i32 s56, s75, s78                                    // 0000000095D0: 92384E4B
	s_add_u32 s88, s56, s88                                    // 0000000095D4: 80585838
	s_addc_u32 s89, 0, s89                                     // 0000000095D8: 82595980
	s_mul_i32 s56, s75, s81                                    // 0000000095DC: 9238514B
	s_mov_b32 s90, s56                                         // 0000000095E0: BEDA0038
	s_mul_i32 s56, 0x100, s7                                   // 0000000095E4: 923807FF 00000100
	v_lshrrev_b32_e32 v22, 5, v0                               // 0000000095EC: 202C0085
	s_mov_b32 s57, 0x400                                       // 0000000095F0: BEB900FF 00000400
	v_mul_i32_i24_e32 v22, s57, v22                            // 0000000095F8: 0C2C2C39
	v_and_b32_e32 v5, 31, v0                                   // 0000000095FC: 260A009F
	v_lshlrev_b32_e32 v5, 4, v5                                // 000000009600: 240A0A84
	v_add_u32_e32 v5, v5, v22                                  // 000000009604: 680A2D05
	v_add_u32_e64 v5, v5, s56                                  // 000000009608: D1340005 00007105
	v_lshlrev_b32_e32 v2, 3, v0                                // 000000009610: 24040083
	s_mov_b32 s56, 0x5000                                      // 000000009614: BEB800FF 00005000
	s_mul_i32 s56, s7, s56                                     // 00000000961C: 92383807
	v_add_u32_e32 v2, s56, v2                                  // 000000009620: 68040438
	v_cvt_pk_bf16_f32 v34, v34, v35                            // 000000009624: D2680022 00024722
	v_cvt_pk_bf16_f32 v35, v36, v37                            // 00000000962C: D2680023 00024B24
	v_cvt_pk_bf16_f32 v36, v38, v39                            // 000000009634: D2680024 00024F26
	v_cvt_pk_bf16_f32 v37, v40, v41                            // 00000000963C: D2680025 00025328
	v_cvt_pk_bf16_f32 v38, v42, v43                            // 000000009644: D2680026 0002572A
	v_cvt_pk_bf16_f32 v39, v44, v45                            // 00000000964C: D2680027 00025B2C
	v_cvt_pk_bf16_f32 v40, v46, v47                            // 000000009654: D2680028 00025F2E
	v_cvt_pk_bf16_f32 v41, v48, v49                            // 00000000965C: D2680029 00026330
	v_cvt_pk_bf16_f32 v42, v50, v51                            // 000000009664: D268002A 00026732
	v_cvt_pk_bf16_f32 v43, v52, v53                            // 00000000966C: D268002B 00026B34
	v_cvt_pk_bf16_f32 v44, v54, v55                            // 000000009674: D268002C 00026F36
	v_cvt_pk_bf16_f32 v45, v56, v57                            // 00000000967C: D268002D 00027338
	v_cvt_pk_bf16_f32 v46, v58, v59                            // 000000009684: D268002E 0002773A
	v_cvt_pk_bf16_f32 v47, v60, v61                            // 00000000968C: D268002F 00027B3C
	v_cvt_pk_bf16_f32 v48, v62, v63                            // 000000009694: D2680030 00027F3E
	v_cvt_pk_bf16_f32 v49, v64, v65                            // 00000000969C: D2680031 00028340
	ds_write_b64 v2, v[34:35]                                  // 0000000096A4: D89A0000 00002202
	s_mov_b32 s56, 0x208                                       // 0000000096AC: BEB800FF 00000208
	v_add_u32_e32 v2, s56, v2                                  // 0000000096B4: 68040438
	ds_write_b64 v2, v[36:37]                                  // 0000000096B8: D89A0000 00002402
	s_mov_b32 s56, 0x208                                       // 0000000096C0: BEB800FF 00000208
	v_add_u32_e32 v2, s56, v2                                  // 0000000096C8: 68040438
	ds_write_b64 v2, v[38:39]                                  // 0000000096CC: D89A0000 00002602
	s_mov_b32 s56, 0x208                                       // 0000000096D4: BEB800FF 00000208
	v_add_u32_e32 v2, s56, v2                                  // 0000000096DC: 68040438
	ds_write_b64 v2, v[40:41]                                  // 0000000096E0: D89A0000 00002802
	s_mov_b32 s56, 0x208                                       // 0000000096E8: BEB800FF 00000208
	v_add_u32_e32 v2, s56, v2                                  // 0000000096F0: 68040438
	ds_write_b64 v2, v[42:43]                                  // 0000000096F4: D89A0000 00002A02
	s_mov_b32 s56, 0x208                                       // 0000000096FC: BEB800FF 00000208
	v_add_u32_e32 v2, s56, v2                                  // 000000009704: 68040438
	ds_write_b64 v2, v[44:45]                                  // 000000009708: D89A0000 00002C02
	s_mov_b32 s56, 0x208                                       // 000000009710: BEB800FF 00000208
	v_add_u32_e32 v2, s56, v2                                  // 000000009718: 68040438
	ds_write_b64 v2, v[46:47]                                  // 00000000971C: D89A0000 00002E02
	s_mov_b32 s56, 0x208                                       // 000000009724: BEB800FF 00000208
	v_add_u32_e32 v2, s56, v2                                  // 00000000972C: 68040438
	ds_write_b64 v2, v[48:49]                                  // 000000009730: D89A0000 00003002
	s_mov_b32 s56, 0x208                                       // 000000009738: BEB800FF 00000208
	v_add_u32_e32 v2, s56, v2                                  // 000000009740: 68040438
	v_cvt_pk_bf16_f32 v34, v66, v67                            // 000000009744: D2680022 00028742
	v_cvt_pk_bf16_f32 v35, v68, v69                            // 00000000974C: D2680023 00028B44
	v_cvt_pk_bf16_f32 v36, v70, v71                            // 000000009754: D2680024 00028F46
	v_cvt_pk_bf16_f32 v37, v72, v73                            // 00000000975C: D2680025 00029348
	v_cvt_pk_bf16_f32 v38, v74, v75                            // 000000009764: D2680026 0002974A
	v_cvt_pk_bf16_f32 v39, v76, v77                            // 00000000976C: D2680027 00029B4C
	v_cvt_pk_bf16_f32 v40, v78, v79                            // 000000009774: D2680028 00029F4E
	v_cvt_pk_bf16_f32 v41, v80, v81                            // 00000000977C: D2680029 0002A350
	v_cvt_pk_bf16_f32 v42, v82, v83                            // 000000009784: D268002A 0002A752
	v_cvt_pk_bf16_f32 v43, v84, v85                            // 00000000978C: D268002B 0002AB54
	v_cvt_pk_bf16_f32 v44, v86, v87                            // 000000009794: D268002C 0002AF56
	v_cvt_pk_bf16_f32 v45, v88, v89                            // 00000000979C: D268002D 0002B358
	v_cvt_pk_bf16_f32 v46, v90, v91                            // 0000000097A4: D268002E 0002B75A
	v_cvt_pk_bf16_f32 v47, v92, v93                            // 0000000097AC: D268002F 0002BB5C
	v_cvt_pk_bf16_f32 v48, v94, v95                            // 0000000097B4: D2680030 0002BF5E
	v_cvt_pk_bf16_f32 v49, v96, v97                            // 0000000097BC: D2680031 0002C360
	ds_write_b64 v2, v[34:35]                                  // 0000000097C4: D89A0000 00002202
	s_mov_b32 s56, 0x208                                       // 0000000097CC: BEB800FF 00000208
	v_add_u32_e32 v2, s56, v2                                  // 0000000097D4: 68040438
	ds_write_b64 v2, v[36:37]                                  // 0000000097D8: D89A0000 00002402
	s_mov_b32 s56, 0x208                                       // 0000000097E0: BEB800FF 00000208
	v_add_u32_e32 v2, s56, v2                                  // 0000000097E8: 68040438
	ds_write_b64 v2, v[38:39]                                  // 0000000097EC: D89A0000 00002602
	s_mov_b32 s56, 0x208                                       // 0000000097F4: BEB800FF 00000208
	v_add_u32_e32 v2, s56, v2                                  // 0000000097FC: 68040438
	ds_write_b64 v2, v[40:41]                                  // 000000009800: D89A0000 00002802
	s_mov_b32 s56, 0x208                                       // 000000009808: BEB800FF 00000208
	v_add_u32_e32 v2, s56, v2                                  // 000000009810: 68040438
	ds_write_b64 v2, v[42:43]                                  // 000000009814: D89A0000 00002A02
	s_mov_b32 s56, 0x208                                       // 00000000981C: BEB800FF 00000208
	v_add_u32_e32 v2, s56, v2                                  // 000000009824: 68040438
	ds_write_b64 v2, v[44:45]                                  // 000000009828: D89A0000 00002C02
	s_mov_b32 s56, 0x208                                       // 000000009830: BEB800FF 00000208
	v_add_u32_e32 v2, s56, v2                                  // 000000009838: 68040438
	ds_write_b64 v2, v[46:47]                                  // 00000000983C: D89A0000 00002E02
	s_mov_b32 s56, 0x208                                       // 000000009844: BEB800FF 00000208
	v_add_u32_e32 v2, s56, v2                                  // 00000000984C: 68040438
	ds_write_b64 v2, v[48:49]                                  // 000000009850: D89A0000 00003002
	s_mov_b32 s56, 0x208                                       // 000000009858: BEB800FF 00000208
	v_add_u32_e32 v2, s56, v2                                  // 000000009860: 68040438
	v_cvt_pk_bf16_f32 v34, v98, v99                            // 000000009864: D2680022 0002C762
	v_cvt_pk_bf16_f32 v35, v100, v101                          // 00000000986C: D2680023 0002CB64
	v_cvt_pk_bf16_f32 v36, v102, v103                          // 000000009874: D2680024 0002CF66
	v_cvt_pk_bf16_f32 v37, v104, v105                          // 00000000987C: D2680025 0002D368
	v_cvt_pk_bf16_f32 v38, v106, v107                          // 000000009884: D2680026 0002D76A
	v_cvt_pk_bf16_f32 v39, v108, v109                          // 00000000988C: D2680027 0002DB6C
	v_cvt_pk_bf16_f32 v40, v110, v111                          // 000000009894: D2680028 0002DF6E
	v_cvt_pk_bf16_f32 v41, v112, v113                          // 00000000989C: D2680029 0002E370
	v_cvt_pk_bf16_f32 v42, v114, v115                          // 0000000098A4: D268002A 0002E772
	v_cvt_pk_bf16_f32 v43, v116, v117                          // 0000000098AC: D268002B 0002EB74
	v_cvt_pk_bf16_f32 v44, v118, v119                          // 0000000098B4: D268002C 0002EF76
	v_cvt_pk_bf16_f32 v45, v120, v121                          // 0000000098BC: D268002D 0002F378
	v_cvt_pk_bf16_f32 v46, v122, v123                          // 0000000098C4: D268002E 0002F77A
	v_cvt_pk_bf16_f32 v47, v124, v125                          // 0000000098CC: D268002F 0002FB7C
	v_cvt_pk_bf16_f32 v48, v126, v127                          // 0000000098D4: D2680030 0002FF7E
	v_cvt_pk_bf16_f32 v49, v128, v129                          // 0000000098DC: D2680031 00030380
	ds_write_b64 v2, v[34:35]                                  // 0000000098E4: D89A0000 00002202
	s_mov_b32 s56, 0x208                                       // 0000000098EC: BEB800FF 00000208
	v_add_u32_e32 v2, s56, v2                                  // 0000000098F4: 68040438
	ds_write_b64 v2, v[36:37]                                  // 0000000098F8: D89A0000 00002402
	s_mov_b32 s56, 0x208                                       // 000000009900: BEB800FF 00000208
	v_add_u32_e32 v2, s56, v2                                  // 000000009908: 68040438
	ds_write_b64 v2, v[38:39]                                  // 00000000990C: D89A0000 00002602
	s_mov_b32 s56, 0x208                                       // 000000009914: BEB800FF 00000208
	v_add_u32_e32 v2, s56, v2                                  // 00000000991C: 68040438
	ds_write_b64 v2, v[40:41]                                  // 000000009920: D89A0000 00002802
	s_mov_b32 s56, 0x208                                       // 000000009928: BEB800FF 00000208
	v_add_u32_e32 v2, s56, v2                                  // 000000009930: 68040438
	ds_write_b64 v2, v[42:43]                                  // 000000009934: D89A0000 00002A02
	s_mov_b32 s56, 0x208                                       // 00000000993C: BEB800FF 00000208
	v_add_u32_e32 v2, s56, v2                                  // 000000009944: 68040438
	ds_write_b64 v2, v[44:45]                                  // 000000009948: D89A0000 00002C02
	s_mov_b32 s56, 0x208                                       // 000000009950: BEB800FF 00000208
	v_add_u32_e32 v2, s56, v2                                  // 000000009958: 68040438
	ds_write_b64 v2, v[46:47]                                  // 00000000995C: D89A0000 00002E02
	s_mov_b32 s56, 0x208                                       // 000000009964: BEB800FF 00000208
	v_add_u32_e32 v2, s56, v2                                  // 00000000996C: 68040438
	ds_write_b64 v2, v[48:49]                                  // 000000009970: D89A0000 00003002
	s_mov_b32 s56, 0x208                                       // 000000009978: BEB800FF 00000208
	v_add_u32_e32 v2, s56, v2                                  // 000000009980: 68040438
	v_cvt_pk_bf16_f32 v34, v130, v131                          // 000000009984: D2680022 00030782
	v_cvt_pk_bf16_f32 v35, v132, v133                          // 00000000998C: D2680023 00030B84
	v_cvt_pk_bf16_f32 v36, v134, v135                          // 000000009994: D2680024 00030F86
	v_cvt_pk_bf16_f32 v37, v136, v137                          // 00000000999C: D2680025 00031388
	v_cvt_pk_bf16_f32 v38, v138, v139                          // 0000000099A4: D2680026 0003178A
	v_cvt_pk_bf16_f32 v39, v140, v141                          // 0000000099AC: D2680027 00031B8C
	v_cvt_pk_bf16_f32 v40, v142, v143                          // 0000000099B4: D2680028 00031F8E
	v_cvt_pk_bf16_f32 v41, v144, v145                          // 0000000099BC: D2680029 00032390
	v_cvt_pk_bf16_f32 v42, v146, v147                          // 0000000099C4: D268002A 00032792
	v_cvt_pk_bf16_f32 v43, v148, v149                          // 0000000099CC: D268002B 00032B94
	v_cvt_pk_bf16_f32 v44, v150, v151                          // 0000000099D4: D268002C 00032F96
	v_cvt_pk_bf16_f32 v45, v152, v153                          // 0000000099DC: D268002D 00033398
	v_cvt_pk_bf16_f32 v46, v154, v155                          // 0000000099E4: D268002E 0003379A
	v_cvt_pk_bf16_f32 v47, v156, v157                          // 0000000099EC: D268002F 00033B9C
	v_cvt_pk_bf16_f32 v48, v158, v159                          // 0000000099F4: D2680030 00033F9E
	v_cvt_pk_bf16_f32 v49, v160, v161                          // 0000000099FC: D2680031 000343A0
	ds_write_b64 v2, v[34:35]                                  // 000000009A04: D89A0000 00002202
	s_mov_b32 s56, 0x208                                       // 000000009A0C: BEB800FF 00000208
	v_add_u32_e32 v2, s56, v2                                  // 000000009A14: 68040438
	ds_write_b64 v2, v[36:37]                                  // 000000009A18: D89A0000 00002402
	s_mov_b32 s56, 0x208                                       // 000000009A20: BEB800FF 00000208
	v_add_u32_e32 v2, s56, v2                                  // 000000009A28: 68040438
	ds_write_b64 v2, v[38:39]                                  // 000000009A2C: D89A0000 00002602
	s_mov_b32 s56, 0x208                                       // 000000009A34: BEB800FF 00000208
	v_add_u32_e32 v2, s56, v2                                  // 000000009A3C: 68040438
	ds_write_b64 v2, v[40:41]                                  // 000000009A40: D89A0000 00002802
	s_mov_b32 s56, 0x208                                       // 000000009A48: BEB800FF 00000208
	v_add_u32_e32 v2, s56, v2                                  // 000000009A50: 68040438
	ds_write_b64 v2, v[42:43]                                  // 000000009A54: D89A0000 00002A02
	s_mov_b32 s56, 0x208                                       // 000000009A5C: BEB800FF 00000208
	v_add_u32_e32 v2, s56, v2                                  // 000000009A64: 68040438
	ds_write_b64 v2, v[44:45]                                  // 000000009A68: D89A0000 00002C02
	s_mov_b32 s56, 0x208                                       // 000000009A70: BEB800FF 00000208
	v_add_u32_e32 v2, s56, v2                                  // 000000009A78: 68040438
	ds_write_b64 v2, v[46:47]                                  // 000000009A7C: D89A0000 00002E02
	s_mov_b32 s56, 0x208                                       // 000000009A84: BEB800FF 00000208
	v_add_u32_e32 v2, s56, v2                                  // 000000009A8C: 68040438
	ds_write_b64 v2, v[48:49]                                  // 000000009A90: D89A0000 00003002
	s_mov_b32 s56, 0x208                                       // 000000009A98: BEB800FF 00000208
	v_add_u32_e32 v2, s56, v2                                  // 000000009AA0: 68040438
	s_mov_b32 s56, 0x100                                       // 000000009AA4: BEB800FF 00000100
	v_mul_i32_i24_e32 v2, s56, v0                              // 000000009AAC: 0C040038
	v_lshrrev_b32_e32 v22, 1, v0                               // 000000009AB0: 202C0081
	v_lshlrev_b32_e32 v22, 3, v22                              // 000000009AB4: 242C2C83
	v_add_u32_e32 v2, v2, v22                                  // 000000009AB8: 68042D02
	s_mov_b32 s57, 0x80                                        // 000000009ABC: BEB900FF 00000080
	v_add_u32_e32 v3, s57, v2                                  // 000000009AC4: 68060439
	s_mov_b32 s57, 0x5000                                      // 000000009AC8: BEB900FF 00005000
	s_mul_i32 s56, s57, s7                                     // 000000009AD0: 92380739
	v_add_u32_e32 v2, s56, v2                                  // 000000009AD4: 68040438
	v_add_u32_e32 v3, s56, v3                                  // 000000009AD8: 68060638
	s_mul_i32 s56, s75, s7                                     // 000000009ADC: 9238074B
	v_lshlrev_b32_e32 v5, 4, v0                                // 000000009AE0: 240A0084
	v_add_u32_e32 v5, s56, v5                                  // 000000009AE4: 680A0A38
	s_waitcnt lgkmcnt(0)                                       // 000000009AE8: BF8CC07F
	ds_read_b64 v[34:35], v2                                   // 000000009AEC: D8EC0000 22000002
	ds_read_b64 v[36:37], v3                                   // 000000009AF4: D8EC0000 24000003
	ds_read_b64 v[38:39], v2 offset:8                          // 000000009AFC: D8EC0008 26000002
	ds_read_b64 v[40:41], v3 offset:8                          // 000000009B04: D8EC0008 28000003
	s_waitcnt lgkmcnt(2)                                       // 000000009B0C: BF8CC27F
	buffer_store_dwordx4 v[34:37], v5, s[88:91], 0 offen       // 000000009B10: E07C1000 80162205
	v_add_u32_e32 v5, 0x400, v5                                // 000000009B18: 680A0AFF 00000400
	ds_read_b64 v[42:43], v2 offset:16                         // 000000009B20: D8EC0010 2A000002
	ds_read_b64 v[44:45], v3 offset:16                         // 000000009B28: D8EC0010 2C000003
	s_waitcnt lgkmcnt(2)                                       // 000000009B30: BF8CC27F
	buffer_store_dwordx4 v[38:41], v5, s[88:91], 0 offen       // 000000009B34: E07C1000 80162605
	v_add_u32_e32 v5, 0x400, v5                                // 000000009B3C: 680A0AFF 00000400
	ds_read_b64 v[46:47], v2 offset:24                         // 000000009B44: D8EC0018 2E000002
	ds_read_b64 v[48:49], v3 offset:24                         // 000000009B4C: D8EC0018 30000003
	s_waitcnt lgkmcnt(2)                                       // 000000009B54: BF8CC27F
	buffer_store_dwordx4 v[42:45], v5, s[88:91], 0 offen       // 000000009B58: E07C1000 80162A05
	v_add_u32_e32 v5, 0x400, v5                                // 000000009B60: 680A0AFF 00000400
	s_waitcnt lgkmcnt(0)                                       // 000000009B68: BF8CC07F
	buffer_store_dwordx4 v[46:49], v5, s[88:91], 0 offen       // 000000009B6C: E07C1000 80162E05
	v_add_u32_e32 v5, 0x400, v5                                // 000000009B74: 680A0AFF 00000400
	ds_read_b64 v[50:51], v2 offset:32                         // 000000009B7C: D8EC0020 32000002
	ds_read_b64 v[52:53], v3 offset:32                         // 000000009B84: D8EC0020 34000003
	ds_read_b64 v[54:55], v2 offset:40                         // 000000009B8C: D8EC0028 36000002
	ds_read_b64 v[56:57], v3 offset:40                         // 000000009B94: D8EC0028 38000003
	s_waitcnt lgkmcnt(2)                                       // 000000009B9C: BF8CC27F
	buffer_store_dwordx4 v[50:53], v5, s[88:91], 0 offen       // 000000009BA0: E07C1000 80163205
	v_add_u32_e32 v5, 0x400, v5                                // 000000009BA8: 680A0AFF 00000400
	ds_read_b64 v[58:59], v2 offset:48                         // 000000009BB0: D8EC0030 3A000002
	ds_read_b64 v[60:61], v3 offset:48                         // 000000009BB8: D8EC0030 3C000003
	s_waitcnt lgkmcnt(2)                                       // 000000009BC0: BF8CC27F
	buffer_store_dwordx4 v[54:57], v5, s[88:91], 0 offen       // 000000009BC4: E07C1000 80163605
	v_add_u32_e32 v5, 0x400, v5                                // 000000009BCC: 680A0AFF 00000400
	ds_read_b64 v[62:63], v2 offset:56                         // 000000009BD4: D8EC0038 3E000002
	ds_read_b64 v[64:65], v3 offset:56                         // 000000009BDC: D8EC0038 40000003
	s_waitcnt lgkmcnt(2)                                       // 000000009BE4: BF8CC27F
	buffer_store_dwordx4 v[58:61], v5, s[88:91], 0 offen       // 000000009BE8: E07C1000 80163A05
	v_add_u32_e32 v5, 0x400, v5                                // 000000009BF0: 680A0AFF 00000400
	s_waitcnt lgkmcnt(0)                                       // 000000009BF8: BF8CC07F
	buffer_store_dwordx4 v[62:65], v5, s[88:91], 0 offen       // 000000009BFC: E07C1000 80163E05
	v_add_u32_e32 v5, 0x400, v5                                // 000000009C04: 680A0AFF 00000400
	ds_read_b64 v[66:67], v2 offset:64                         // 000000009C0C: D8EC0040 42000002
	ds_read_b64 v[68:69], v3 offset:64                         // 000000009C14: D8EC0040 44000003
	ds_read_b64 v[70:71], v2 offset:72                         // 000000009C1C: D8EC0048 46000002
	ds_read_b64 v[72:73], v3 offset:72                         // 000000009C24: D8EC0048 48000003
	s_waitcnt lgkmcnt(2)                                       // 000000009C2C: BF8CC27F
	buffer_store_dwordx4 v[66:69], v5, s[88:91], 0 offen       // 000000009C30: E07C1000 80164205
	v_add_u32_e32 v5, 0x400, v5                                // 000000009C38: 680A0AFF 00000400
	ds_read_b64 v[74:75], v2 offset:80                         // 000000009C40: D8EC0050 4A000002
	ds_read_b64 v[76:77], v3 offset:80                         // 000000009C48: D8EC0050 4C000003
	s_waitcnt lgkmcnt(2)                                       // 000000009C50: BF8CC27F
	buffer_store_dwordx4 v[70:73], v5, s[88:91], 0 offen       // 000000009C54: E07C1000 80164605
	v_add_u32_e32 v5, 0x400, v5                                // 000000009C5C: 680A0AFF 00000400
	ds_read_b64 v[78:79], v2 offset:88                         // 000000009C64: D8EC0058 4E000002
	ds_read_b64 v[80:81], v3 offset:88                         // 000000009C6C: D8EC0058 50000003
	s_waitcnt lgkmcnt(2)                                       // 000000009C74: BF8CC27F
	buffer_store_dwordx4 v[74:77], v5, s[88:91], 0 offen       // 000000009C78: E07C1000 80164A05
	v_add_u32_e32 v5, 0x400, v5                                // 000000009C80: 680A0AFF 00000400
	s_waitcnt lgkmcnt(0)                                       // 000000009C88: BF8CC07F
	buffer_store_dwordx4 v[78:81], v5, s[88:91], 0 offen       // 000000009C8C: E07C1000 80164E05
	v_add_u32_e32 v5, 0x400, v5                                // 000000009C94: 680A0AFF 00000400
	ds_read_b64 v[82:83], v2 offset:96                         // 000000009C9C: D8EC0060 52000002
	ds_read_b64 v[84:85], v3 offset:96                         // 000000009CA4: D8EC0060 54000003
	ds_read_b64 v[86:87], v2 offset:104                        // 000000009CAC: D8EC0068 56000002
	ds_read_b64 v[88:89], v3 offset:104                        // 000000009CB4: D8EC0068 58000003
	s_waitcnt lgkmcnt(2)                                       // 000000009CBC: BF8CC27F
	buffer_store_dwordx4 v[82:85], v5, s[88:91], 0 offen       // 000000009CC0: E07C1000 80165205
	v_add_u32_e32 v5, 0x400, v5                                // 000000009CC8: 680A0AFF 00000400
	ds_read_b64 v[90:91], v2 offset:112                        // 000000009CD0: D8EC0070 5A000002
	ds_read_b64 v[92:93], v3 offset:112                        // 000000009CD8: D8EC0070 5C000003
	s_waitcnt lgkmcnt(2)                                       // 000000009CE0: BF8CC27F
	buffer_store_dwordx4 v[86:89], v5, s[88:91], 0 offen       // 000000009CE4: E07C1000 80165605
	v_add_u32_e32 v5, 0x400, v5                                // 000000009CEC: 680A0AFF 00000400
	ds_read_b64 v[94:95], v2 offset:120                        // 000000009CF4: D8EC0078 5E000002
	ds_read_b64 v[96:97], v3 offset:120                        // 000000009CFC: D8EC0078 60000003
	s_waitcnt lgkmcnt(2)                                       // 000000009D04: BF8CC27F
	buffer_store_dwordx4 v[90:93], v5, s[88:91], 0 offen       // 000000009D08: E07C1000 80165A05
	v_add_u32_e32 v5, 0x400, v5                                // 000000009D10: 680A0AFF 00000400
	s_waitcnt lgkmcnt(0)                                       // 000000009D18: BF8CC07F
	buffer_store_dwordx4 v[94:97], v5, s[88:91], 0 offen       // 000000009D1C: E07C1000 80165E05
	v_add_u32_e32 v5, 0x400, v5                                // 000000009D24: 680A0AFF 00000400

0000000000009d2c <label_7C34>:
	s_mov_b32 s56, 32                                          // 000000009D2C: BEB800A0
	s_addk_i32 s85, 0x1                                        // 000000009D30: B7550001
	s_cmp_lt_i32 s85, s86                                      // 000000009D34: BF045655
	s_cbranch_scc1 label_00A4                                  // 000000009D38: BF85E19A

0000000000009d3c <label_7C44>:
	s_waitcnt vmcnt(0) expcnt(0) lgkmcnt(0)                    // 000000009D3C: BF8C0000
	s_endpgm                                                   // 000000009D40: BF810000
